;; amdgpu-corpus repo=ROCm/rocFFT kind=compiled arch=gfx906 opt=O3
	.text
	.amdgcn_target "amdgcn-amd-amdhsa--gfx906"
	.amdhsa_code_object_version 6
	.protected	fft_rtc_fwd_len2880_factors_10_6_6_2_2_2_wgs_96_tpt_96_halfLds_half_op_CI_CI_sbrr_dirReg ; -- Begin function fft_rtc_fwd_len2880_factors_10_6_6_2_2_2_wgs_96_tpt_96_halfLds_half_op_CI_CI_sbrr_dirReg
	.globl	fft_rtc_fwd_len2880_factors_10_6_6_2_2_2_wgs_96_tpt_96_halfLds_half_op_CI_CI_sbrr_dirReg
	.p2align	8
	.type	fft_rtc_fwd_len2880_factors_10_6_6_2_2_2_wgs_96_tpt_96_halfLds_half_op_CI_CI_sbrr_dirReg,@function
fft_rtc_fwd_len2880_factors_10_6_6_2_2_2_wgs_96_tpt_96_halfLds_half_op_CI_CI_sbrr_dirReg: ; @fft_rtc_fwd_len2880_factors_10_6_6_2_2_2_wgs_96_tpt_96_halfLds_half_op_CI_CI_sbrr_dirReg
; %bb.0:
	s_load_dwordx4 s[16:19], s[4:5], 0x18
	s_load_dwordx4 s[12:15], s[4:5], 0x0
	;; [unrolled: 1-line block ×3, first 2 shown]
	v_mul_u32_u24_e32 v1, 0x2ab, v0
	v_add_u32_sdwa v7, s6, v1 dst_sel:DWORD dst_unused:UNUSED_PAD src0_sel:DWORD src1_sel:WORD_1
	s_waitcnt lgkmcnt(0)
	s_load_dwordx2 s[20:21], s[16:17], 0x0
	s_load_dwordx2 s[2:3], s[18:19], 0x0
	v_cmp_lt_u64_e64 s[0:1], s[14:15], 2
	v_mov_b32_e32 v1, 0
	v_mov_b32_e32 v29, 0
	;; [unrolled: 1-line block ×3, first 2 shown]
	s_and_b64 vcc, exec, s[0:1]
	v_mov_b32_e32 v30, 0
	s_cbranch_vccnz .LBB0_8
; %bb.1:
	s_load_dwordx2 s[0:1], s[4:5], 0x10
	s_add_u32 s6, s18, 8
	s_addc_u32 s7, s19, 0
	s_add_u32 s22, s16, 8
	s_addc_u32 s23, s17, 0
	v_mov_b32_e32 v29, 0
	s_waitcnt lgkmcnt(0)
	s_add_u32 s24, s0, 8
	v_mov_b32_e32 v30, 0
	v_mov_b32_e32 v3, v29
	s_addc_u32 s25, s1, 0
	s_mov_b64 s[26:27], 1
	v_mov_b32_e32 v4, v30
.LBB0_2:                                ; =>This Inner Loop Header: Depth=1
	s_load_dwordx2 s[28:29], s[24:25], 0x0
                                        ; implicit-def: $vgpr5_vgpr6
	s_waitcnt lgkmcnt(0)
	v_or_b32_e32 v2, s29, v8
	v_cmp_ne_u64_e32 vcc, 0, v[1:2]
	s_and_saveexec_b64 s[0:1], vcc
	s_xor_b64 s[30:31], exec, s[0:1]
	s_cbranch_execz .LBB0_4
; %bb.3:                                ;   in Loop: Header=BB0_2 Depth=1
	v_cvt_f32_u32_e32 v2, s28
	v_cvt_f32_u32_e32 v5, s29
	s_sub_u32 s0, 0, s28
	s_subb_u32 s1, 0, s29
	v_mac_f32_e32 v2, 0x4f800000, v5
	v_rcp_f32_e32 v2, v2
	v_mul_f32_e32 v2, 0x5f7ffffc, v2
	v_mul_f32_e32 v5, 0x2f800000, v2
	v_trunc_f32_e32 v5, v5
	v_mac_f32_e32 v2, 0xcf800000, v5
	v_cvt_u32_f32_e32 v5, v5
	v_cvt_u32_f32_e32 v2, v2
	v_mul_lo_u32 v6, s0, v5
	v_mul_hi_u32 v9, s0, v2
	v_mul_lo_u32 v11, s1, v2
	v_mul_lo_u32 v10, s0, v2
	v_add_u32_e32 v6, v9, v6
	v_add_u32_e32 v6, v6, v11
	v_mul_hi_u32 v9, v2, v10
	v_mul_lo_u32 v11, v2, v6
	v_mul_hi_u32 v13, v2, v6
	v_mul_hi_u32 v12, v5, v10
	v_mul_lo_u32 v10, v5, v10
	v_mul_hi_u32 v14, v5, v6
	v_add_co_u32_e32 v9, vcc, v9, v11
	v_addc_co_u32_e32 v11, vcc, 0, v13, vcc
	v_mul_lo_u32 v6, v5, v6
	v_add_co_u32_e32 v9, vcc, v9, v10
	v_addc_co_u32_e32 v9, vcc, v11, v12, vcc
	v_addc_co_u32_e32 v10, vcc, 0, v14, vcc
	v_add_co_u32_e32 v6, vcc, v9, v6
	v_addc_co_u32_e32 v9, vcc, 0, v10, vcc
	v_add_co_u32_e32 v2, vcc, v2, v6
	v_addc_co_u32_e32 v5, vcc, v5, v9, vcc
	v_mul_lo_u32 v6, s0, v5
	v_mul_hi_u32 v9, s0, v2
	v_mul_lo_u32 v10, s1, v2
	v_mul_lo_u32 v11, s0, v2
	v_add_u32_e32 v6, v9, v6
	v_add_u32_e32 v6, v6, v10
	v_mul_lo_u32 v12, v2, v6
	v_mul_hi_u32 v13, v2, v11
	v_mul_hi_u32 v14, v2, v6
	;; [unrolled: 1-line block ×3, first 2 shown]
	v_mul_lo_u32 v11, v5, v11
	v_mul_hi_u32 v9, v5, v6
	v_add_co_u32_e32 v12, vcc, v13, v12
	v_addc_co_u32_e32 v13, vcc, 0, v14, vcc
	v_mul_lo_u32 v6, v5, v6
	v_add_co_u32_e32 v11, vcc, v12, v11
	v_addc_co_u32_e32 v10, vcc, v13, v10, vcc
	v_addc_co_u32_e32 v9, vcc, 0, v9, vcc
	v_add_co_u32_e32 v6, vcc, v10, v6
	v_addc_co_u32_e32 v9, vcc, 0, v9, vcc
	v_add_co_u32_e32 v2, vcc, v2, v6
	v_addc_co_u32_e32 v9, vcc, v5, v9, vcc
	v_mad_u64_u32 v[5:6], s[0:1], v7, v9, 0
	v_mul_hi_u32 v10, v7, v2
	v_add_co_u32_e32 v11, vcc, v10, v5
	v_addc_co_u32_e32 v12, vcc, 0, v6, vcc
	v_mad_u64_u32 v[5:6], s[0:1], v8, v2, 0
	v_mad_u64_u32 v[9:10], s[0:1], v8, v9, 0
	v_add_co_u32_e32 v2, vcc, v11, v5
	v_addc_co_u32_e32 v2, vcc, v12, v6, vcc
	v_addc_co_u32_e32 v5, vcc, 0, v10, vcc
	v_add_co_u32_e32 v2, vcc, v2, v9
	v_addc_co_u32_e32 v9, vcc, 0, v5, vcc
	v_mul_lo_u32 v10, s29, v2
	v_mul_lo_u32 v11, s28, v9
	v_mad_u64_u32 v[5:6], s[0:1], s28, v2, 0
	v_add3_u32 v6, v6, v11, v10
	v_sub_u32_e32 v10, v8, v6
	v_mov_b32_e32 v11, s29
	v_sub_co_u32_e32 v5, vcc, v7, v5
	v_subb_co_u32_e64 v10, s[0:1], v10, v11, vcc
	v_subrev_co_u32_e64 v11, s[0:1], s28, v5
	v_subbrev_co_u32_e64 v10, s[0:1], 0, v10, s[0:1]
	v_cmp_le_u32_e64 s[0:1], s29, v10
	v_cndmask_b32_e64 v12, 0, -1, s[0:1]
	v_cmp_le_u32_e64 s[0:1], s28, v11
	v_cndmask_b32_e64 v11, 0, -1, s[0:1]
	v_cmp_eq_u32_e64 s[0:1], s29, v10
	v_cndmask_b32_e64 v10, v12, v11, s[0:1]
	v_add_co_u32_e64 v11, s[0:1], 2, v2
	v_addc_co_u32_e64 v12, s[0:1], 0, v9, s[0:1]
	v_add_co_u32_e64 v13, s[0:1], 1, v2
	v_addc_co_u32_e64 v14, s[0:1], 0, v9, s[0:1]
	v_subb_co_u32_e32 v6, vcc, v8, v6, vcc
	v_cmp_ne_u32_e64 s[0:1], 0, v10
	v_cmp_le_u32_e32 vcc, s29, v6
	v_cndmask_b32_e64 v10, v14, v12, s[0:1]
	v_cndmask_b32_e64 v12, 0, -1, vcc
	v_cmp_le_u32_e32 vcc, s28, v5
	v_cndmask_b32_e64 v5, 0, -1, vcc
	v_cmp_eq_u32_e32 vcc, s29, v6
	v_cndmask_b32_e32 v5, v12, v5, vcc
	v_cmp_ne_u32_e32 vcc, 0, v5
	v_cndmask_b32_e64 v5, v13, v11, s[0:1]
	v_cndmask_b32_e32 v6, v9, v10, vcc
	v_cndmask_b32_e32 v5, v2, v5, vcc
.LBB0_4:                                ;   in Loop: Header=BB0_2 Depth=1
	s_andn2_saveexec_b64 s[0:1], s[30:31]
	s_cbranch_execz .LBB0_6
; %bb.5:                                ;   in Loop: Header=BB0_2 Depth=1
	v_cvt_f32_u32_e32 v2, s28
	s_sub_i32 s30, 0, s28
	v_rcp_iflag_f32_e32 v2, v2
	v_mul_f32_e32 v2, 0x4f7ffffe, v2
	v_cvt_u32_f32_e32 v2, v2
	v_mul_lo_u32 v5, s30, v2
	v_mul_hi_u32 v5, v2, v5
	v_add_u32_e32 v2, v2, v5
	v_mul_hi_u32 v2, v7, v2
	v_mul_lo_u32 v5, v2, s28
	v_add_u32_e32 v6, 1, v2
	v_sub_u32_e32 v5, v7, v5
	v_subrev_u32_e32 v9, s28, v5
	v_cmp_le_u32_e32 vcc, s28, v5
	v_cndmask_b32_e32 v5, v5, v9, vcc
	v_cndmask_b32_e32 v2, v2, v6, vcc
	v_add_u32_e32 v6, 1, v2
	v_cmp_le_u32_e32 vcc, s28, v5
	v_cndmask_b32_e32 v5, v2, v6, vcc
	v_mov_b32_e32 v6, v1
.LBB0_6:                                ;   in Loop: Header=BB0_2 Depth=1
	s_or_b64 exec, exec, s[0:1]
	v_mul_lo_u32 v2, v6, s28
	v_mul_lo_u32 v11, v5, s29
	v_mad_u64_u32 v[9:10], s[0:1], v5, s28, 0
	s_load_dwordx2 s[0:1], s[22:23], 0x0
	s_load_dwordx2 s[28:29], s[6:7], 0x0
	v_add3_u32 v2, v10, v11, v2
	v_sub_co_u32_e32 v7, vcc, v7, v9
	v_subb_co_u32_e32 v2, vcc, v8, v2, vcc
	s_waitcnt lgkmcnt(0)
	v_mul_lo_u32 v8, s0, v2
	v_mul_lo_u32 v9, s1, v7
	v_mad_u64_u32 v[29:30], s[0:1], s0, v7, v[29:30]
	s_add_u32 s26, s26, 1
	s_addc_u32 s27, s27, 0
	s_add_u32 s6, s6, 8
	v_mul_lo_u32 v2, s28, v2
	v_mul_lo_u32 v10, s29, v7
	v_mad_u64_u32 v[3:4], s[0:1], s28, v7, v[3:4]
	v_add3_u32 v30, v9, v30, v8
	s_addc_u32 s7, s7, 0
	v_mov_b32_e32 v7, s14
	s_add_u32 s22, s22, 8
	v_mov_b32_e32 v8, s15
	s_addc_u32 s23, s23, 0
	v_cmp_ge_u64_e32 vcc, s[26:27], v[7:8]
	s_add_u32 s24, s24, 8
	v_add3_u32 v4, v10, v4, v2
	s_addc_u32 s25, s25, 0
	s_cbranch_vccnz .LBB0_9
; %bb.7:                                ;   in Loop: Header=BB0_2 Depth=1
	v_mov_b32_e32 v8, v6
	v_mov_b32_e32 v7, v5
	s_branch .LBB0_2
.LBB0_8:
	v_mov_b32_e32 v3, v29
	v_mov_b32_e32 v5, v7
	;; [unrolled: 1-line block ×4, first 2 shown]
.LBB0_9:
	s_load_dwordx2 s[0:1], s[4:5], 0x28
	s_lshl_b64 s[14:15], s[14:15], 3
	s_add_u32 s4, s18, s14
	s_addc_u32 s5, s19, s15
                                        ; implicit-def: $vgpr1
                                        ; implicit-def: $vgpr11
                                        ; implicit-def: $vgpr17
                                        ; implicit-def: $vgpr27
                                        ; implicit-def: $vgpr13
                                        ; implicit-def: $vgpr23
                                        ; implicit-def: $vgpr25
                                        ; implicit-def: $vgpr21
                                        ; implicit-def: $vgpr7
                                        ; implicit-def: $vgpr16
                                        ; implicit-def: $vgpr8
                                        ; implicit-def: $vgpr19
                                        ; implicit-def: $vgpr9
                                        ; implicit-def: $vgpr14
                                        ; implicit-def: $vgpr20
	s_waitcnt lgkmcnt(0)
	v_cmp_gt_u64_e32 vcc, s[0:1], v[5:6]
	v_cmp_le_u64_e64 s[0:1], s[0:1], v[5:6]
	s_and_saveexec_b64 s[6:7], s[0:1]
	s_xor_b64 s[0:1], exec, s[6:7]
	s_cbranch_execz .LBB0_11
; %bb.10:
	s_mov_b32 s6, 0x2aaaaab
	v_mul_hi_u32 v1, v0, s6
	v_mov_b32_e32 v2, 0
	v_mov_b32_e32 v12, v2
	;; [unrolled: 1-line block ×3, first 2 shown]
	v_mul_u32_u24_e32 v1, 0x60, v1
	v_sub_u32_e32 v1, v0, v1
	v_add_u32_e32 v11, 0x60, v1
	v_add_u32_e32 v17, 0xc0, v1
	;; [unrolled: 1-line block ×5, first 2 shown]
	v_or_b32_e32 v25, 0x180, v1
	v_add_u32_e32 v21, 0x240, v1
	v_add_u32_e32 v7, 0x2a0, v1
	v_or_b32_e32 v16, 0x300, v1
	v_add_u32_e32 v8, 0x360, v1
	v_add_u32_e32 v19, 0x420, v1
	v_or_b32_e32 v9, 0x480, v1
	v_add_u32_e32 v14, 0x4e0, v1
	v_mov_b32_e32 v24, v2
	v_mov_b32_e32 v26, v2
	;; [unrolled: 1-line block ×4, first 2 shown]
	v_add_u32_e32 v20, 0x540, v1
                                        ; implicit-def: $vgpr0
                                        ; implicit-def: $vgpr29_vgpr30
.LBB0_11:
	s_or_saveexec_b64 s[6:7], s[0:1]
                                        ; implicit-def: $vgpr58
                                        ; implicit-def: $vgpr33
                                        ; implicit-def: $vgpr59
                                        ; implicit-def: $vgpr45
                                        ; implicit-def: $vgpr70
                                        ; implicit-def: $vgpr36
                                        ; implicit-def: $vgpr71
                                        ; implicit-def: $vgpr35
                                        ; implicit-def: $vgpr72
                                        ; implicit-def: $vgpr46
                                        ; implicit-def: $vgpr65
                                        ; implicit-def: $vgpr10
                                        ; implicit-def: $vgpr66
                                        ; implicit-def: $vgpr42
                                        ; implicit-def: $vgpr67
                                        ; implicit-def: $vgpr41
                                        ; implicit-def: $vgpr68
                                        ; implicit-def: $vgpr37
                                        ; implicit-def: $vgpr69
                                        ; implicit-def: $vgpr53
                                        ; implicit-def: $vgpr57
                                        ; implicit-def: $vgpr39
                                        ; implicit-def: $vgpr61
                                        ; implicit-def: $vgpr47
                                        ; implicit-def: $vgpr62
                                        ; implicit-def: $vgpr52
                                        ; implicit-def: $vgpr63
                                        ; implicit-def: $vgpr54
                                        ; implicit-def: $vgpr64
                                        ; implicit-def: $vgpr56
                                        ; implicit-def: $vgpr49
                                        ; implicit-def: $vgpr43
                                        ; implicit-def: $vgpr50
                                        ; implicit-def: $vgpr48
                                        ; implicit-def: $vgpr55
                                        ; implicit-def: $vgpr38
                                        ; implicit-def: $vgpr40
                                        ; implicit-def: $vgpr51
                                        ; implicit-def: $vgpr44
                                        ; implicit-def: $vgpr60
                                        ; implicit-def: $vgpr31
                                        ; implicit-def: $vgpr32
                                        ; implicit-def: $vgpr15
                                        ; implicit-def: $vgpr34
                                        ; implicit-def: $vgpr83
	s_xor_b64 exec, exec, s[6:7]
	s_cbranch_execz .LBB0_13
; %bb.12:
	s_add_u32 s0, s16, s14
	s_mov_b32 s14, 0x2aaaaab
	v_mul_hi_u32 v1, v0, s14
	s_addc_u32 s1, s17, s15
	s_load_dwordx2 s[0:1], s[0:1], 0x0
	v_mul_u32_u24_e32 v1, 0x60, v1
	v_sub_u32_e32 v1, v0, v1
	v_mad_u64_u32 v[7:8], s[14:15], s20, v1, 0
	s_waitcnt lgkmcnt(0)
	v_mul_lo_u32 v2, s1, v5
	v_mul_lo_u32 v13, s0, v6
	v_mad_u64_u32 v[9:10], s[0:1], s0, v5, 0
	v_mov_b32_e32 v0, v8
	v_mad_u64_u32 v[11:12], s[0:1], s21, v1, v[0:1]
	v_add3_u32 v10, v10, v13, v2
	v_lshlrev_b64 v[9:10], 2, v[9:10]
	v_mov_b32_e32 v0, s9
	v_add_co_u32_e64 v2, s[0:1], s8, v9
	v_mov_b32_e32 v8, v11
	v_addc_co_u32_e64 v11, s[0:1], v0, v10, s[0:1]
	v_lshlrev_b64 v[9:10], 2, v[29:30]
	v_add_u32_e32 v23, 0x120, v1
	v_add_co_u32_e64 v0, s[0:1], v2, v9
	v_addc_co_u32_e64 v2, s[0:1], v11, v10, s[0:1]
	v_mad_u64_u32 v[9:10], s[0:1], s20, v23, 0
	v_lshlrev_b64 v[7:8], 2, v[7:8]
	v_add_u32_e32 v21, 0x240, v1
	v_add_co_u32_e64 v7, s[0:1], v0, v7
	v_addc_co_u32_e64 v8, s[0:1], v2, v8, s[0:1]
	v_mad_u64_u32 v[10:11], s[0:1], s21, v23, v[10:11]
	v_mad_u64_u32 v[11:12], s[0:1], s20, v21, 0
	global_load_dword v33, v[7:8], off
	v_lshlrev_b64 v[9:10], 2, v[9:10]
	v_mov_b32_e32 v7, v12
	v_mad_u64_u32 v[7:8], s[0:1], s21, v21, v[7:8]
	v_add_u32_e32 v8, 0x360, v1
	v_mad_u64_u32 v[13:14], s[0:1], s20, v8, 0
	v_add_co_u32_e64 v16, s[0:1], v0, v9
	v_or_b32_e32 v9, 0x480, v1
	v_addc_co_u32_e64 v17, s[0:1], v2, v10, s[0:1]
	v_mov_b32_e32 v12, v7
	v_mov_b32_e32 v7, v14
	v_mad_u64_u32 v[18:19], s[0:1], s20, v9, 0
	v_mad_u64_u32 v[14:15], s[0:1], s21, v8, v[7:8]
	v_lshlrev_b64 v[10:11], 2, v[11:12]
	v_mov_b32_e32 v7, v19
	v_add_co_u32_e64 v24, s[0:1], v0, v10
	v_addc_co_u32_e64 v25, s[0:1], v2, v11, s[0:1]
	v_lshlrev_b64 v[10:11], 2, v[13:14]
	v_mad_u64_u32 v[12:13], s[0:1], s21, v9, v[7:8]
	v_add_u32_e32 v15, 0x5a0, v1
	v_mad_u64_u32 v[13:14], s[0:1], s20, v15, 0
	v_add_co_u32_e64 v26, s[0:1], v0, v10
	v_mov_b32_e32 v19, v12
	v_add_u32_e32 v12, 0x6c0, v1
	v_addc_co_u32_e64 v27, s[0:1], v2, v11, s[0:1]
	v_lshlrev_b64 v[10:11], 2, v[18:19]
	v_mov_b32_e32 v7, v14
	v_mad_u64_u32 v[18:19], s[0:1], s20, v12, 0
	v_mad_u64_u32 v[14:15], s[0:1], s21, v15, v[7:8]
	v_add_co_u32_e64 v28, s[0:1], v0, v10
	v_mov_b32_e32 v7, v19
	v_addc_co_u32_e64 v29, s[0:1], v2, v11, s[0:1]
	v_lshlrev_b64 v[10:11], 2, v[13:14]
	v_mad_u64_u32 v[12:13], s[0:1], s21, v12, v[7:8]
	v_add_u32_e32 v15, 0x7e0, v1
	v_mad_u64_u32 v[13:14], s[0:1], s20, v15, 0
	v_add_co_u32_e64 v36, s[0:1], v0, v10
	v_mov_b32_e32 v19, v12
	v_or_b32_e32 v12, 0x900, v1
	v_addc_co_u32_e64 v37, s[0:1], v2, v11, s[0:1]
	v_lshlrev_b64 v[10:11], 2, v[18:19]
	v_mov_b32_e32 v7, v14
	v_mad_u64_u32 v[18:19], s[0:1], s20, v12, 0
	v_mad_u64_u32 v[14:15], s[0:1], s21, v15, v[7:8]
	v_add_co_u32_e64 v38, s[0:1], v0, v10
	v_mov_b32_e32 v7, v19
	v_addc_co_u32_e64 v39, s[0:1], v2, v11, s[0:1]
	v_lshlrev_b64 v[10:11], 2, v[13:14]
	v_mad_u64_u32 v[12:13], s[0:1], s21, v12, v[7:8]
	v_add_u32_e32 v15, 0xa20, v1
	v_mad_u64_u32 v[13:14], s[0:1], s20, v15, 0
	v_add_co_u32_e64 v40, s[0:1], v0, v10
	v_mov_b32_e32 v7, v14
	v_addc_co_u32_e64 v41, s[0:1], v2, v11, s[0:1]
	v_mov_b32_e32 v19, v12
	v_mad_u64_u32 v[14:15], s[0:1], s21, v15, v[7:8]
	v_lshlrev_b64 v[10:11], 2, v[18:19]
	global_load_dword v15, v[40:41], off
	global_load_dword v35, v[38:39], off
	;; [unrolled: 1-line block ×3, first 2 shown]
	v_add_co_u32_e64 v18, s[0:1], v0, v10
	v_addc_co_u32_e64 v19, s[0:1], v2, v11, s[0:1]
	v_lshlrev_b64 v[10:11], 2, v[13:14]
	global_load_dword v36, v[28:29], off
	global_load_dword v32, v[26:27], off
	global_load_dword v45, v[24:25], off
	global_load_dword v83, v[16:17], off
	v_add_co_u32_e64 v12, s[0:1], v0, v10
	v_addc_co_u32_e64 v13, s[0:1], v2, v11, s[0:1]
	v_add_u32_e32 v11, 0x60, v1
	v_mad_u64_u32 v[42:43], s[0:1], s20, v11, 0
	v_or_b32_e32 v25, 0x180, v1
	v_mad_u64_u32 v[26:27], s[0:1], s20, v25, 0
	v_mov_b32_e32 v7, v43
	v_mad_u64_u32 v[37:38], s[0:1], s21, v11, v[7:8]
	v_mov_b32_e32 v7, v27
	v_add_u32_e32 v14, 0x4e0, v1
	v_mov_b32_e32 v43, v37
	v_lshlrev_b64 v[16:17], 2, v[42:43]
	v_or_b32_e32 v22, 0x600, v1
	v_add_co_u32_e64 v16, s[0:1], v0, v16
	v_addc_co_u32_e64 v17, s[0:1], v2, v17, s[0:1]
	v_mad_u64_u32 v[27:28], s[0:1], s21, v25, v[7:8]
	v_add_u32_e32 v7, 0x2a0, v1
	v_mad_u64_u32 v[28:29], s[0:1], s20, v7, 0
	global_load_dword v46, v[18:19], off
	global_load_dword v34, v[12:13], off
	;; [unrolled: 1-line block ×3, first 2 shown]
	v_lshlrev_b64 v[16:17], 2, v[26:27]
	v_mov_b32_e32 v12, v29
	v_mad_u64_u32 v[12:13], s[0:1], s21, v7, v[12:13]
	v_add_u32_e32 v13, 0x3c0, v1
	v_mad_u64_u32 v[18:19], s[0:1], s20, v13, 0
	v_add_co_u32_e64 v26, s[0:1], v0, v16
	v_mov_b32_e32 v29, v12
	v_addc_co_u32_e64 v27, s[0:1], v2, v17, s[0:1]
	v_lshlrev_b64 v[16:17], 2, v[28:29]
	v_mov_b32_e32 v12, v19
	v_mad_u64_u32 v[28:29], s[0:1], s20, v14, 0
	v_mad_u64_u32 v[19:20], s[0:1], s21, v13, v[12:13]
	v_add_co_u32_e64 v43, s[0:1], v0, v16
	v_mov_b32_e32 v12, v29
	v_addc_co_u32_e64 v44, s[0:1], v2, v17, s[0:1]
	v_lshlrev_b64 v[16:17], 2, v[18:19]
	v_mad_u64_u32 v[18:19], s[0:1], s21, v14, v[12:13]
	v_mad_u64_u32 v[19:20], s[0:1], s20, v22, 0
	v_add_co_u32_e64 v47, s[0:1], v0, v16
	v_mov_b32_e32 v29, v18
	v_mov_b32_e32 v12, v20
	v_addc_co_u32_e64 v48, s[0:1], v2, v17, s[0:1]
	v_lshlrev_b64 v[16:17], 2, v[28:29]
	v_mad_u64_u32 v[28:29], s[0:1], s21, v22, v[12:13]
	v_add_u32_e32 v18, 0x720, v1
	v_mad_u64_u32 v[29:30], s[0:1], s20, v18, 0
	v_add_co_u32_e64 v49, s[0:1], v0, v16
	v_mov_b32_e32 v20, v28
	v_mov_b32_e32 v12, v30
	v_addc_co_u32_e64 v50, s[0:1], v2, v17, s[0:1]
	v_lshlrev_b64 v[16:17], 2, v[19:20]
	v_mad_u64_u32 v[18:19], s[0:1], s21, v18, v[12:13]
	v_add_co_u32_e64 v19, s[0:1], v0, v16
	v_mov_b32_e32 v30, v18
	v_add_u32_e32 v18, 0x840, v1
	v_addc_co_u32_e64 v20, s[0:1], v2, v17, s[0:1]
	v_lshlrev_b64 v[16:17], 2, v[29:30]
	v_mad_u64_u32 v[28:29], s[0:1], s20, v18, 0
	v_add_co_u32_e64 v16, s[0:1], v0, v16
	v_mov_b32_e32 v12, v29
	v_addc_co_u32_e64 v17, s[0:1], v2, v17, s[0:1]
	v_mad_u64_u32 v[29:30], s[0:1], s21, v18, v[12:13]
	v_add_u32_e32 v18, 0x960, v1
	v_mad_u64_u32 v[38:39], s[0:1], s20, v18, 0
	global_load_dword v37, v[16:17], off
	v_lshlrev_b64 v[16:17], 2, v[28:29]
	v_mov_b32_e32 v12, v39
	v_mad_u64_u32 v[28:29], s[0:1], s21, v18, v[12:13]
	v_or_b32_e32 v18, 0xa80, v1
	v_mad_u64_u32 v[29:30], s[0:1], s20, v18, 0
	v_add_co_u32_e64 v56, s[0:1], v0, v16
	v_mov_b32_e32 v39, v28
	v_addc_co_u32_e64 v57, s[0:1], v2, v17, s[0:1]
	v_lshlrev_b64 v[16:17], 2, v[38:39]
	v_mov_b32_e32 v12, v30
	v_mad_u64_u32 v[38:39], s[0:1], s21, v18, v[12:13]
	v_add_co_u32_e64 v58, s[0:1], v0, v16
	v_addc_co_u32_e64 v59, s[0:1], v2, v17, s[0:1]
	v_add_u32_e32 v17, 0xc0, v1
	v_mad_u64_u32 v[51:52], s[0:1], s20, v17, 0
	v_mov_b32_e32 v30, v38
	v_lshlrev_b64 v[28:29], 2, v[29:30]
	v_mov_b32_e32 v12, v52
	v_add_co_u32_e64 v28, s[0:1], v0, v28
	v_addc_co_u32_e64 v29, s[0:1], v2, v29, s[0:1]
	global_load_dword v38, v[19:20], off
	v_mad_u64_u32 v[18:19], s[0:1], s21, v17, v[12:13]
	global_load_dword v41, v[49:50], off
	global_load_dword v40, v[47:48], off
	;; [unrolled: 1-line block ×4, first 2 shown]
	v_add_u32_e32 v27, 0x1e0, v1
	v_mov_b32_e32 v52, v18
	v_lshlrev_b64 v[18:19], 2, v[51:52]
	v_mad_u64_u32 v[47:48], s[0:1], s20, v27, 0
	v_add_co_u32_e64 v18, s[0:1], v0, v18
	v_or_b32_e32 v16, 0x300, v1
	v_addc_co_u32_e64 v19, s[0:1], v2, v19, s[0:1]
	v_mad_u64_u32 v[49:50], s[0:1], s20, v16, 0
	v_mov_b32_e32 v12, v48
	v_mad_u64_u32 v[43:44], s[0:1], s21, v27, v[12:13]
	v_mov_b32_e32 v12, v50
	global_load_dword v44, v[28:29], off
	global_load_dword v39, v[18:19], off
	v_mad_u64_u32 v[18:19], s[0:1], s21, v16, v[12:13]
	v_mov_b32_e32 v48, v43
	v_add_u32_e32 v19, 0x420, v1
	v_lshlrev_b64 v[28:29], 2, v[47:48]
	v_mad_u64_u32 v[47:48], s[0:1], s20, v19, 0
	v_add_co_u32_e64 v28, s[0:1], v0, v28
	v_mov_b32_e32 v50, v18
	v_mov_b32_e32 v12, v48
	v_addc_co_u32_e64 v29, s[0:1], v2, v29, s[0:1]
	v_lshlrev_b64 v[49:50], 2, v[49:50]
	v_mad_u64_u32 v[51:52], s[0:1], s21, v19, v[12:13]
	v_add_co_u32_e64 v49, s[0:1], v0, v49
	v_add_u32_e32 v20, 0x540, v1
	v_addc_co_u32_e64 v50, s[0:1], v2, v50, s[0:1]
	v_mad_u64_u32 v[61:62], s[0:1], s20, v20, 0
	v_mov_b32_e32 v48, v51
	v_lshlrev_b64 v[47:48], 2, v[47:48]
	v_mov_b32_e32 v12, v62
	v_add_co_u32_e64 v63, s[0:1], v0, v47
	v_addc_co_u32_e64 v64, s[0:1], v2, v48, s[0:1]
	v_mad_u64_u32 v[52:53], s[0:1], s21, v20, v[12:13]
	v_add_u32_e32 v18, 0x660, v1
	global_load_dword v43, v[63:64], off
	global_load_dword v47, v[49:50], off
	;; [unrolled: 1-line block ×5, first 2 shown]
	v_mad_u64_u32 v[48:49], s[0:1], s20, v18, 0
	v_mov_b32_e32 v62, v52
	v_lshlrev_b64 v[28:29], 2, v[61:62]
	v_mov_b32_e32 v12, v49
	v_add_co_u32_e64 v28, s[0:1], v0, v28
	v_addc_co_u32_e64 v29, s[0:1], v2, v29, s[0:1]
	v_mad_u64_u32 v[49:50], s[0:1], s21, v18, v[12:13]
	v_or_b32_e32 v18, 0x780, v1
	v_mad_u64_u32 v[56:57], s[0:1], s20, v18, 0
	global_load_dword v52, v[28:29], off
	v_lshlrev_b64 v[28:29], 2, v[48:49]
	v_mov_b32_e32 v12, v57
	v_mad_u64_u32 v[48:49], s[0:1], s21, v18, v[12:13]
	v_add_co_u32_e64 v28, s[0:1], v0, v28
	v_mov_b32_e32 v57, v48
	v_add_u32_e32 v18, 0x8a0, v1
	v_addc_co_u32_e64 v29, s[0:1], v2, v29, s[0:1]
	v_lshlrev_b64 v[48:49], 2, v[56:57]
	v_mad_u64_u32 v[56:57], s[0:1], s20, v18, 0
	v_add_co_u32_e64 v48, s[0:1], v0, v48
	v_mov_b32_e32 v12, v57
	v_addc_co_u32_e64 v49, s[0:1], v2, v49, s[0:1]
	v_mad_u64_u32 v[57:58], s[0:1], s21, v18, v[12:13]
	v_add_u32_e32 v18, 0x9c0, v1
	v_mad_u64_u32 v[58:59], s[0:1], s20, v18, 0
	global_load_dword v54, v[48:49], off
	v_lshlrev_b64 v[48:49], 2, v[56:57]
	v_mov_b32_e32 v12, v59
	v_mad_u64_u32 v[56:57], s[0:1], s21, v18, v[12:13]
	v_add_u32_e32 v18, 0xae0, v1
	v_mad_u64_u32 v[61:62], s[0:1], s20, v18, 0
	v_add_co_u32_e64 v63, s[0:1], v0, v48
	v_mov_b32_e32 v12, v62
	v_addc_co_u32_e64 v64, s[0:1], v2, v49, s[0:1]
	v_mov_b32_e32 v59, v56
	v_mad_u64_u32 v[56:57], s[0:1], s21, v18, v[12:13]
	v_lshlrev_b64 v[48:49], 2, v[58:59]
	s_waitcnt vmcnt(19)
	v_lshrrev_b32_e32 v59, 16, v45
	v_add_co_u32_e64 v57, s[0:1], v0, v48
	v_mov_b32_e32 v62, v56
	v_addc_co_u32_e64 v58, s[0:1], v2, v49, s[0:1]
	v_lshlrev_b64 v[48:49], 2, v[61:62]
	v_lshrrev_b32_e32 v70, 16, v36
	v_add_co_u32_e64 v61, s[0:1], v0, v48
	v_addc_co_u32_e64 v62, s[0:1], v2, v49, s[0:1]
	global_load_dword v48, v[61:62], off
	global_load_dword v56, v[57:58], off
	;; [unrolled: 1-line block ×4, first 2 shown]
	v_mov_b32_e32 v2, 0
	v_lshrrev_b32_e32 v58, 16, v33
	v_mov_b32_e32 v24, v2
	v_mov_b32_e32 v22, v2
	v_lshrrev_b32_e32 v71, 16, v35
	s_waitcnt vmcnt(21)
	v_lshrrev_b32_e32 v72, 16, v46
	v_mov_b32_e32 v12, v2
	s_waitcnt vmcnt(19)
	v_lshrrev_b32_e32 v65, 16, v10
	v_mov_b32_e32 v26, v2
	s_waitcnt vmcnt(14)
	v_lshrrev_b32_e32 v66, 16, v42
	v_lshrrev_b32_e32 v67, 16, v41
	;; [unrolled: 1-line block ×3, first 2 shown]
	s_waitcnt vmcnt(7)
	v_lshrrev_b32_e32 v69, 16, v53
	v_mov_b32_e32 v18, v2
	v_lshrrev_b32_e32 v57, 16, v39
	v_mov_b32_e32 v28, v2
	v_lshrrev_b32_e32 v61, 16, v47
	s_waitcnt vmcnt(5)
	v_lshrrev_b32_e32 v62, 16, v52
	s_waitcnt vmcnt(4)
	;; [unrolled: 2-line block ×3, first 2 shown]
	v_lshrrev_b32_e32 v64, 16, v56
.LBB0_13:
	s_or_b64 exec, exec, s[6:7]
	v_add_f16_e32 v29, v36, v35
	v_fma_f16 v29, v29, -0.5, v33
	v_sub_f16_e32 v30, v59, v72
	s_movk_i32 s1, 0x3b9c
	s_mov_b32 s8, 0xbb9c
	v_fma_f16 v73, v30, s1, v29
	v_sub_f16_e32 v74, v70, v71
	s_movk_i32 s9, 0x38b4
	v_sub_f16_e32 v75, v45, v36
	v_sub_f16_e32 v76, v46, v35
	v_fma_f16 v29, v30, s8, v29
	s_mov_b32 s7, 0xb8b4
	v_fma_f16 v73, v74, s9, v73
	v_add_f16_e32 v75, v75, v76
	s_movk_i32 s6, 0x34f2
	v_fma_f16 v29, v74, s7, v29
	v_fma_f16 v73, v75, s6, v73
	v_fma_f16 v75, v75, s6, v29
	v_add_f16_e32 v29, v45, v46
	v_fma_f16 v29, v29, -0.5, v33
	v_add_f16_e32 v0, v33, v45
	v_fma_f16 v33, v74, s8, v29
	v_sub_f16_e32 v76, v36, v45
	v_sub_f16_e32 v77, v35, v46
	v_fma_f16 v29, v74, s1, v29
	v_add_f16_e32 v76, v76, v77
	v_fma_f16 v29, v30, s7, v29
	v_fma_f16 v79, v76, s6, v29
	v_add_f16_e32 v29, v58, v59
	v_add_f16_e32 v29, v29, v70
	v_add_f16_e32 v29, v29, v71
	v_add_f16_e32 v0, v0, v36
	v_fma_f16 v33, v30, s9, v33
	v_add_f16_e32 v30, v29, v72
	v_add_f16_e32 v29, v70, v71
	;; [unrolled: 1-line block ×3, first 2 shown]
	v_fma_f16 v78, v76, s6, v33
	v_fma_f16 v33, v29, -0.5, v58
	v_sub_f16_e32 v45, v45, v46
	v_add_f16_e32 v0, v0, v46
	v_fma_f16 v29, v45, s8, v33
	v_sub_f16_e32 v35, v36, v35
	v_sub_f16_e32 v36, v59, v70
	;; [unrolled: 1-line block ×3, first 2 shown]
	v_fma_f16 v33, v45, s1, v33
	v_fma_f16 v29, v35, s7, v29
	v_add_f16_e32 v36, v36, v46
	v_fma_f16 v33, v35, s9, v33
	v_fma_f16 v29, v36, s6, v29
	;; [unrolled: 1-line block ×3, first 2 shown]
	v_add_f16_e32 v36, v59, v72
	v_fma_f16 v36, v36, -0.5, v58
	v_fma_f16 v46, v35, s1, v36
	v_fma_f16 v35, v35, s8, v36
	;; [unrolled: 1-line block ×3, first 2 shown]
	v_add_f16_e32 v35, v83, v32
	v_fma_f16 v97, v45, s7, v46
	v_sub_f16_e32 v46, v70, v59
	v_sub_f16_e32 v58, v71, v72
	v_add_f16_e32 v35, v35, v31
	v_add_f16_e32 v46, v46, v58
	;; [unrolled: 1-line block ×3, first 2 shown]
	v_pk_add_f16 v58, v32, v31 neg_lo:[0,1] neg_hi:[0,1]
	v_pk_add_f16 v59, v34, v15 neg_lo:[0,1] neg_hi:[0,1]
	v_add_f16_e32 v36, v35, v34
	v_add_f16_e32 v35, v31, v15
	v_pk_add_f16 v100, v32, v34 neg_lo:[0,1] neg_hi:[0,1]
	v_pk_add_f16 v101, v31, v15 neg_lo:[0,1] neg_hi:[0,1]
	v_pk_add_f16 v58, v58, v59
	s_mov_b32 s0, 0xffff
	v_fma_f16 v35, v35, -0.5, v83
	v_lshrrev_b32_e32 v45, 16, v100
	v_bfi_b32 v58, s0, v58, v101
	s_mov_b32 s14, 0x38b434f2
	v_mul_f16_e32 v98, 0x34f2, v46
	v_fma_f16 v46, v45, s1, v35
	v_pk_mul_f16 v58, v58, s14
	v_fma_f16 v35, v45, s8, v35
	v_add_f16_sdwa v46, v58, v46 dst_sel:DWORD dst_unused:UNUSED_PAD src0_sel:WORD_1 src1_sel:DWORD
	v_sub_f16_sdwa v35, v35, v58 dst_sel:DWORD dst_unused:UNUSED_PAD src0_sel:DWORD src1_sel:WORD_1
	v_lshrrev_b32_e32 v45, 16, v83
	v_add_f16_e32 v46, v58, v46
	v_add_f16_e32 v35, v58, v35
	v_add_f16_sdwa v58, v45, v32 dst_sel:DWORD dst_unused:UNUSED_PAD src0_sel:DWORD src1_sel:WORD_1
	v_add_f16_sdwa v58, v58, v31 dst_sel:DWORD dst_unused:UNUSED_PAD src0_sel:DWORD src1_sel:WORD_1
	;; [unrolled: 1-line block ×4, first 2 shown]
	v_add_f16_sdwa v58, v31, v15 dst_sel:DWORD dst_unused:UNUSED_PAD src0_sel:WORD_1 src1_sel:WORD_1
	v_fma_f16 v45, v58, -0.5, v45
	v_pk_add_f16 v102, v32, v34
	v_pk_add_f16 v92, v31, v32 neg_lo:[0,1] neg_hi:[0,1]
	v_pk_add_f16 v93, v15, v34 neg_lo:[0,1] neg_hi:[0,1]
	v_fma_f16 v58, v100, s8, v45
	v_sub_f16_sdwa v31, v32, v31 dst_sel:DWORD dst_unused:UNUSED_PAD src0_sel:WORD_1 src1_sel:WORD_1
	v_sub_f16_sdwa v15, v34, v15 dst_sel:DWORD dst_unused:UNUSED_PAD src0_sel:WORD_1 src1_sel:WORD_1
	v_fma_f16 v32, v100, s1, v45
	v_fma_f16 v58, v101, s7, v58
	v_add_f16_e32 v15, v31, v15
	v_fma_f16 v32, v101, s9, v32
	v_fma_f16 v31, v15, s6, v58
	v_fma_f16 v15, v15, s6, v32
	v_mul_f16_e32 v34, 0x3a79, v35
	v_fma_f16 v45, v15, s9, -v34
	v_mul_f16_e32 v15, 0x3a79, v15
	v_fma_f16 v15, v35, s7, -v15
	v_mul_f16_e32 v32, 0x38b4, v31
	s_movk_i32 s15, 0x3a79
	v_add_f16_e32 v35, v33, v15
	v_sub_f16_e32 v33, v33, v15
	v_add_f16_e32 v15, v41, v37
	v_add_f16_e32 v90, v0, v36
	v_fma_f16 v32, v46, s15, v32
	v_add_f16_e32 v58, v30, v70
	v_mul_f16_e32 v34, 0xb8b4, v46
	v_sub_f16_e32 v87, v0, v36
	v_sub_f16_e32 v36, v30, v70
	v_fma_f16 v15, v15, -0.5, v10
	v_sub_f16_e32 v30, v66, v69
	v_add_f16_e32 v91, v73, v32
	v_add_f16_e32 v86, v75, v45
	v_fma_f16 v34, v31, s15, v34
	v_sub_f16_e32 v89, v73, v32
	v_sub_f16_e32 v76, v75, v45
	v_fma_f16 v31, v30, s1, v15
	v_sub_f16_e32 v32, v67, v68
	v_sub_f16_e32 v45, v42, v41
	;; [unrolled: 1-line block ×3, first 2 shown]
	v_fma_f16 v31, v32, s9, v31
	v_add_f16_e32 v45, v45, v46
	v_fma_f16 v46, v45, s6, v31
	v_add_f16_e32 v31, v42, v53
	v_add_f16_e32 v0, v10, v42
	v_fma_f16 v15, v30, s8, v15
	v_fma_f16 v10, v31, -0.5, v10
	v_fma_f16 v15, v32, s7, v15
	v_fma_f16 v31, v32, s8, v10
	;; [unrolled: 1-line block ×5, first 2 shown]
	v_sub_f16_e32 v45, v41, v42
	v_sub_f16_e32 v70, v37, v53
	v_fma_f16 v10, v30, s7, v10
	v_add_f16_e32 v30, v67, v68
	v_add_f16_e32 v0, v0, v41
	;; [unrolled: 1-line block ×3, first 2 shown]
	v_fma_f16 v30, v30, -0.5, v65
	v_sub_f16_e32 v32, v42, v53
	v_add_f16_e32 v0, v0, v37
	v_fma_f16 v88, v45, s6, v31
	v_fma_f16 v31, v32, s8, v30
	v_sub_f16_e32 v37, v41, v37
	v_sub_f16_e32 v41, v66, v67
	;; [unrolled: 1-line block ×3, first 2 shown]
	v_fma_f16 v30, v32, s1, v30
	v_fma_f16 v31, v37, s7, v31
	v_add_f16_e32 v41, v41, v42
	v_fma_f16 v30, v37, s9, v30
	v_fma_f16 v31, v41, s6, v31
	;; [unrolled: 1-line block ×3, first 2 shown]
	v_add_f16_e32 v41, v66, v69
	v_fma_f16 v41, v41, -0.5, v65
	v_fma_f16 v42, v37, s1, v41
	v_fma_f16 v103, v45, s6, v10
	v_add_f16_e32 v10, v65, v66
	v_fma_f16 v65, v32, s7, v42
	v_sub_f16_e32 v42, v67, v66
	v_sub_f16_e32 v45, v68, v69
	v_add_f16_e32 v0, v0, v53
	v_add_f16_e32 v42, v42, v45
	v_fma_f16 v37, v37, s8, v41
	v_pk_add_f16 v45, v40, v38 neg_lo:[0,1] neg_hi:[0,1]
	v_pk_add_f16 v53, v44, v51 neg_lo:[0,1] neg_hi:[0,1]
	v_fma_f16 v94, v32, s9, v37
	v_add_f16_e32 v37, v38, v51
	v_pk_add_f16 v95, v40, v44 neg_lo:[0,1] neg_hi:[0,1]
	v_pk_add_f16 v96, v38, v51 neg_lo:[0,1] neg_hi:[0,1]
	v_pk_add_f16 v45, v45, v53
	v_fma_f16 v37, v37, -0.5, v60
	v_lshrrev_b32_e32 v41, 16, v95
	v_bfi_b32 v45, s0, v45, v96
	v_mul_f16_e32 v66, 0x34f2, v42
	v_fma_f16 v42, v41, s1, v37
	v_pk_mul_f16 v45, v45, s14
	v_fma_f16 v37, v41, s8, v37
	v_sub_f16_sdwa v37, v37, v45 dst_sel:DWORD dst_unused:UNUSED_PAD src0_sel:DWORD src1_sel:WORD_1
	v_add_f16_sdwa v42, v45, v42 dst_sel:DWORD dst_unused:UNUSED_PAD src0_sel:WORD_1 src1_sel:DWORD
	v_add_f16_e32 v41, v45, v37
	v_lshrrev_b32_e32 v37, 16, v60
	v_add_f16_sdwa v53, v38, v51 dst_sel:DWORD dst_unused:UNUSED_PAD src0_sel:WORD_1 src1_sel:WORD_1
	v_add_f16_e32 v32, v60, v40
	v_add_f16_e32 v42, v45, v42
	v_add_f16_sdwa v45, v37, v40 dst_sel:DWORD dst_unused:UNUSED_PAD src0_sel:DWORD src1_sel:WORD_1
	v_fma_f16 v37, v53, -0.5, v37
	v_add_f16_e32 v32, v32, v38
	v_pk_add_f16 v104, v40, v44
	v_pk_add_f16 v105, v38, v40 neg_lo:[0,1] neg_hi:[0,1]
	v_add_f16_sdwa v45, v45, v38 dst_sel:DWORD dst_unused:UNUSED_PAD src0_sel:DWORD src1_sel:WORD_1
	v_fma_f16 v53, v95, s8, v37
	v_sub_f16_sdwa v38, v40, v38 dst_sel:DWORD dst_unused:UNUSED_PAD src0_sel:WORD_1 src1_sel:WORD_1
	v_sub_f16_sdwa v40, v44, v51 dst_sel:DWORD dst_unused:UNUSED_PAD src0_sel:WORD_1 src1_sel:WORD_1
	v_fma_f16 v53, v96, s7, v53
	v_add_f16_e32 v38, v38, v40
	v_fma_f16 v37, v95, s1, v37
	v_add_f16_e32 v10, v10, v67
	v_fma_f16 v40, v38, s6, v53
	v_fma_f16 v37, v96, s9, v37
	v_add_f16_e32 v10, v10, v68
	v_add_f16_e32 v32, v32, v51
	v_add_f16_sdwa v45, v45, v51 dst_sel:DWORD dst_unused:UNUSED_PAD src0_sel:DWORD src1_sel:WORD_1
	v_fma_f16 v38, v38, s6, v37
	v_mul_f16_e32 v37, 0x38b4, v40
	v_add_f16_e32 v10, v10, v69
	v_add_f16_e32 v32, v32, v44
	v_pk_add_f16 v106, v51, v44 neg_lo:[0,1] neg_hi:[0,1]
	v_add_f16_sdwa v45, v45, v44 dst_sel:DWORD dst_unused:UNUSED_PAD src0_sel:DWORD src1_sel:WORD_1
	v_fma_f16 v44, v42, s15, v37
	v_mul_f16_e32 v37, 0x3a79, v41
	v_add_f16_e32 v82, v46, v44
	v_fma_f16 v67, v38, s9, -v37
	v_add_f16_e32 v51, v10, v45
	v_mul_f16_e32 v37, 0xb8b4, v42
	v_mul_f16_e32 v38, 0x3a79, v38
	v_sub_f16_e32 v80, v46, v44
	v_sub_f16_e32 v46, v10, v45
	v_add_f16_e32 v10, v52, v54
	v_add_f16_e32 v75, v15, v67
	v_fma_f16 v37, v40, s15, v37
	v_fma_f16 v40, v41, s7, -v38
	v_sub_f16_e32 v69, v15, v67
	v_fma_f16 v10, v10, -0.5, v39
	v_sub_f16_e32 v15, v61, v64
	v_add_f16_e32 v81, v0, v32
	v_add_f16_e32 v38, v30, v40
	v_sub_f16_e32 v77, v0, v32
	v_sub_f16_e32 v30, v30, v40
	v_fma_f16 v32, v15, s1, v10
	v_sub_f16_e32 v40, v62, v63
	v_sub_f16_e32 v41, v47, v52
	;; [unrolled: 1-line block ×3, first 2 shown]
	v_fma_f16 v32, v40, s9, v32
	v_add_f16_e32 v41, v41, v42
	v_fma_f16 v42, v41, s6, v32
	v_fma_f16 v10, v15, s8, v10
	v_add_f16_e32 v32, v47, v56
	v_fma_f16 v10, v40, s7, v10
	v_fma_f16 v32, v32, -0.5, v39
	v_add_f16_e32 v0, v39, v47
	v_fma_f16 v10, v41, s6, v10
	v_fma_f16 v39, v40, s8, v32
	v_sub_f16_e32 v41, v52, v47
	v_sub_f16_e32 v44, v54, v56
	v_fma_f16 v32, v40, s1, v32
	v_fma_f16 v39, v15, s9, v39
	v_add_f16_e32 v41, v41, v44
	v_fma_f16 v15, v15, s7, v32
	v_add_f16_e32 v32, v62, v63
	v_fma_f16 v67, v41, s6, v39
	v_fma_f16 v39, v32, -0.5, v57
	v_sub_f16_e32 v40, v47, v56
	v_fma_f16 v107, v41, s6, v15
	v_fma_f16 v32, v40, s8, v39
	v_sub_f16_e32 v41, v52, v54
	v_sub_f16_e32 v44, v61, v62
	;; [unrolled: 1-line block ×3, first 2 shown]
	v_fma_f16 v39, v40, s1, v39
	v_fma_f16 v32, v41, s7, v32
	v_add_f16_e32 v44, v44, v45
	v_fma_f16 v39, v41, s9, v39
	v_fma_f16 v32, v44, s6, v32
	;; [unrolled: 1-line block ×3, first 2 shown]
	v_add_f16_e32 v44, v61, v64
	v_fma_f16 v44, v44, -0.5, v57
	v_add_f16_e32 v0, v0, v52
	v_fma_f16 v45, v41, s1, v44
	v_add_f16_e32 v0, v0, v54
	v_fma_f16 v54, v40, s7, v45
	v_sub_f16_e32 v45, v62, v61
	v_sub_f16_e32 v47, v63, v64
	v_add_f16_e32 v15, v57, v61
	v_add_f16_e32 v45, v45, v47
	v_fma_f16 v41, v41, s8, v44
	s_waitcnt vmcnt(0)
	v_pk_add_f16 v47, v43, v49 neg_lo:[0,1] neg_hi:[0,1]
	v_pk_add_f16 v52, v48, v50 neg_lo:[0,1] neg_hi:[0,1]
	v_add_f16_e32 v15, v15, v62
	v_fma_f16 v57, v40, s9, v41
	v_add_f16_e32 v41, v49, v50
	v_pk_add_f16 v61, v43, v48 neg_lo:[0,1] neg_hi:[0,1]
	v_pk_add_f16 v62, v49, v50 neg_lo:[0,1] neg_hi:[0,1]
	v_pk_add_f16 v47, v47, v52
	v_fma_f16 v41, v41, -0.5, v55
	v_lshrrev_b32_e32 v44, 16, v61
	v_bfi_b32 v47, s0, v47, v62
	v_add_f16_e32 v0, v0, v56
	v_mul_f16_e32 v56, 0x34f2, v45
	v_fma_f16 v45, v44, s1, v41
	v_pk_mul_f16 v47, v47, s14
	v_fma_f16 v41, v44, s8, v41
	v_add_f16_sdwa v45, v47, v45 dst_sel:DWORD dst_unused:UNUSED_PAD src0_sel:WORD_1 src1_sel:DWORD
	v_sub_f16_sdwa v41, v41, v47 dst_sel:DWORD dst_unused:UNUSED_PAD src0_sel:DWORD src1_sel:WORD_1
	v_lshrrev_b32_e32 v44, 16, v55
	v_add_f16_e32 v45, v47, v45
	v_add_f16_e32 v41, v47, v41
	v_add_f16_sdwa v47, v44, v43 dst_sel:DWORD dst_unused:UNUSED_PAD src0_sel:DWORD src1_sel:WORD_1
	v_add_f16_sdwa v47, v47, v49 dst_sel:DWORD dst_unused:UNUSED_PAD src0_sel:DWORD src1_sel:WORD_1
	;; [unrolled: 1-line block ×3, first 2 shown]
	v_add_f16_e32 v15, v15, v63
	v_pk_add_f16 v74, v43, v48
	v_add_f16_sdwa v63, v47, v48 dst_sel:DWORD dst_unused:UNUSED_PAD src0_sel:DWORD src1_sel:WORD_1
	v_add_f16_sdwa v47, v49, v50 dst_sel:DWORD dst_unused:UNUSED_PAD src0_sel:WORD_1 src1_sel:WORD_1
	v_pack_b32_f16 v54, v57, v54
	v_add_f16_e32 v40, v55, v43
	v_fma_f16 v44, v47, -0.5, v44
	v_pk_add_f16 v54, v56, v54 op_sel_hi:[0,1]
	v_pk_fma_f16 v55, v74, 0.5, v55 op_sel_hi:[1,0,1] neg_lo:[1,0,0] neg_hi:[1,0,0]
	v_pk_mul_f16 v56, v62, s1 op_sel_hi:[1,0]
	v_pk_add_f16 v84, v49, v43 neg_lo:[0,1] neg_hi:[0,1]
	v_pk_add_f16 v85, v50, v48 neg_lo:[0,1] neg_hi:[0,1]
	v_fma_f16 v47, v61, s8, v44
	v_fma_f16 v44, v61, s1, v44
	v_pk_add_f16 v57, v56, v55 op_sel:[1,0] op_sel_hi:[0,1]
	v_pk_mul_f16 v61, v61, s9 op_sel_hi:[1,0]
	v_pk_add_f16 v55, v55, v56 op_sel:[0,1] op_sel_hi:[1,0] neg_lo:[0,1] neg_hi:[0,1]
	v_fma_f16 v47, v62, s7, v47
	v_fma_f16 v44, v62, s9, v44
	v_pk_add_f16 v57, v57, v61 op_sel:[0,1] op_sel_hi:[1,0] neg_lo:[0,1] neg_hi:[0,1]
	v_pk_add_f16 v62, v84, v85
	v_pk_add_f16 v55, v61, v55 op_sel:[1,0] op_sel_hi:[0,1]
	v_pk_fma_f16 v57, v62, s6, v57 op_sel_hi:[1,0,1]
	v_pk_fma_f16 v55, v62, s6, v55 op_sel_hi:[1,0,1]
	v_mul_f16_e32 v56, 0x34f2, v55
	v_lshrrev_b32_e32 v61, 16, v57
	v_fma_f16 v56, v61, s1, v56
	v_mul_f16_e32 v61, 0x34f2, v57
	v_lshrrev_b32_e32 v62, 16, v55
	v_fma_f16 v61, v62, s1, -v61
	v_add_f16_e32 v84, v67, v56
	v_add_f16_e32 v85, v107, v61
	v_sub_f16_e32 v74, v67, v56
	v_sub_f16_e32 v67, v107, v61
	v_pack_b32_f16 v61, v94, v65
	v_pk_fma_f16 v60, v104, 0.5, v60 op_sel_hi:[1,0,1] neg_lo:[1,0,0] neg_hi:[1,0,0]
	v_pk_mul_f16 v62, v96, s1 op_sel_hi:[1,0]
	v_pk_add_f16 v61, v66, v61 op_sel_hi:[0,1]
	v_pk_add_f16 v65, v62, v60 op_sel:[1,0] op_sel_hi:[0,1]
	v_pk_mul_f16 v66, v95, s9 op_sel_hi:[1,0]
	v_pk_add_f16 v60, v60, v62 op_sel:[0,1] op_sel_hi:[1,0] neg_lo:[0,1] neg_hi:[0,1]
	v_pk_add_f16 v65, v65, v66 op_sel:[0,1] op_sel_hi:[1,0] neg_lo:[0,1] neg_hi:[0,1]
	v_pk_add_f16 v94, v105, v106
	v_pk_add_f16 v60, v66, v60 op_sel:[1,0] op_sel_hi:[0,1]
	v_pk_fma_f16 v65, v94, s6, v65 op_sel_hi:[1,0,1]
	v_pk_fma_f16 v60, v94, s6, v60 op_sel_hi:[1,0,1]
	v_add_f16_e32 v40, v40, v49
	v_mul_f16_e32 v62, 0x34f2, v60
	v_lshrrev_b32_e32 v66, 16, v65
	v_add_f16_e32 v40, v40, v50
	v_fma_f16 v66, v66, s1, v62
	v_mul_f16_e32 v62, 0x34f2, v65
	v_lshrrev_b32_e32 v94, 16, v60
	v_add_f16_e32 v40, v40, v48
	v_sub_f16_sdwa v43, v43, v49 dst_sel:DWORD dst_unused:UNUSED_PAD src0_sel:WORD_1 src1_sel:WORD_1
	v_sub_f16_sdwa v48, v48, v50 dst_sel:DWORD dst_unused:UNUSED_PAD src0_sel:WORD_1 src1_sel:WORD_1
	v_add_f16_e32 v95, v88, v66
	v_fma_f16 v104, v94, s1, -v62
	v_sub_f16_e32 v94, v88, v66
	v_pack_b32_f16 v66, v99, v97
	v_add_f16_e32 v43, v43, v48
	v_pk_add_f16 v66, v98, v66 op_sel_hi:[0,1]
	v_pk_fma_f16 v97, v102, 0.5, v83 op_sel_hi:[1,0,1] neg_lo:[1,0,0] neg_hi:[1,0,0]
	v_pk_mul_f16 v98, v101, s1 op_sel_hi:[1,0]
	v_fma_f16 v47, v43, s6, v47
	v_fma_f16 v43, v43, s6, v44
	v_mul_f16_e32 v48, 0x3a79, v41
	v_pk_add_f16 v99, v98, v97 op_sel:[1,0] op_sel_hi:[0,1]
	v_pk_mul_f16 v83, v100, s9 op_sel_hi:[1,0]
	v_pk_add_f16 v97, v97, v98 op_sel:[0,1] op_sel_hi:[1,0] neg_lo:[0,1] neg_hi:[0,1]
	v_add_f16_e32 v15, v15, v64
	v_add_f16_e32 v72, v0, v40
	v_mul_f16_e32 v44, 0x38b4, v47
	v_fma_f16 v48, v43, s9, -v48
	v_mul_f16_e32 v43, 0x3a79, v43
	v_sub_f16_e32 v70, v0, v40
	v_mul_u32_u24_e32 v0, 10, v1
	v_pk_add_f16 v99, v99, v83 op_sel:[0,1] op_sel_hi:[1,0] neg_lo:[0,1] neg_hi:[0,1]
	v_pk_add_f16 v92, v92, v93
	v_pk_add_f16 v83, v83, v97 op_sel:[1,0] op_sel_hi:[0,1]
	v_fma_f16 v44, v45, s15, v44
	v_add_f16_e32 v50, v15, v63
	v_mul_f16_e32 v45, 0xb8b4, v45
	v_fma_f16 v41, v41, s7, -v43
	v_sub_f16_e32 v49, v15, v63
	v_lshl_add_u32 v63, v0, 1, 0
	v_mul_i32_i24_e32 v0, 10, v11
	v_pk_fma_f16 v93, v92, s6, v99 op_sel_hi:[1,0,1]
	v_pk_fma_f16 v83, v92, s6, v83 op_sel_hi:[1,0,1]
	v_add_f16_e32 v68, v10, v48
	v_fma_f16 v45, v47, s15, v45
	v_add_f16_e32 v47, v39, v41
	v_sub_f16_e32 v64, v10, v48
	v_sub_f16_e32 v48, v39, v41
	v_lshl_add_u32 v39, v0, 1, 0
	v_mul_i32_i24_e32 v0, 10, v17
	v_mul_f16_e32 v92, 0x34f2, v83
	v_lshrrev_b32_e32 v97, 16, v93
	v_mul_f16_e32 v98, 0x34f2, v93
	v_lshrrev_b32_e32 v99, 16, v83
	v_lshl_add_u32 v40, v0, 1, 0
	s_movk_i32 s7, 0xffee
	s_mov_b32 s8, 0x34f23b9c
	v_fma_f16 v92, v97, s1, v92
	v_fma_f16 v99, v99, s1, -v98
	v_mad_i32_i24 v0, v1, s7, v63
	v_mad_i32_i24 v15, v11, s7, v39
	;; [unrolled: 1-line block ×3, first 2 shown]
	s_mov_b32 s7, 0x34f2bb9c
	v_add_f16_e32 v97, v78, v92
	v_add_f16_e32 v100, v79, v99
	v_pk_mul_f16 v83, v83, s8
	v_pk_fma_f16 v93, v93, s7, v83 op_sel:[0,0,1] op_sel_hi:[1,1,0] neg_lo:[0,0,1] neg_hi:[0,0,1]
	v_sub_f16_e32 v78, v78, v92
	v_sub_f16_e32 v79, v79, v99
	v_pack_b32_f16 v83, v97, v100
	v_pack_b32_f16 v90, v90, v91
	v_add_f16_e32 v96, v103, v104
	v_sub_f16_e32 v88, v103, v104
	ds_write2_b32 v63, v90, v83 offset1:1
	v_pack_b32_f16 v78, v89, v78
	v_pack_b32_f16 v83, v86, v87
	;; [unrolled: 1-line block ×3, first 2 shown]
	v_add_f16_e32 v73, v42, v44
	ds_write2_b32 v63, v83, v78 offset0:2 offset1:3
	ds_write_b32 v63, v76 offset:16
	v_pack_b32_f16 v76, v95, v96
	v_pack_b32_f16 v78, v81, v82
	v_pack_b32_f16 v69, v88, v69
	v_add_f16_e32 v59, v29, v34
	v_sub_f16_e32 v71, v42, v44
	v_pk_mul_f16 v60, v60, s8
	ds_write2_b32 v39, v78, v76 offset1:1
	v_pack_b32_f16 v76, v80, v94
	v_pack_b32_f16 v75, v75, v77
	ds_write_b32 v39, v69 offset:16
	v_pack_b32_f16 v69, v84, v85
	v_pack_b32_f16 v72, v72, v73
	v_bfi_b32 v29, s0, v29, v66
	v_bfi_b32 v34, s0, v34, v93
	v_pk_fma_f16 v62, v65, s7, v60 op_sel:[0,0,1] op_sel_hi:[1,1,0] neg_lo:[0,0,1] neg_hi:[0,0,1]
	v_sub_f16_e32 v92, v66, v93
	ds_write2_b32 v39, v75, v76 offset0:2 offset1:3
	ds_write2_b32 v40, v72, v69 offset1:1
	v_pack_b32_f16 v69, v71, v74
	v_pack_b32_f16 v68, v68, v70
	v_pack_b32_f16 v64, v67, v64
	v_pk_add_f16 v29, v29, v34 neg_lo:[0,1] neg_hi:[0,1]
	v_pack_b32_f16 v34, v35, v36
	s_load_dwordx2 s[4:5], s[4:5], 0x0
	v_add_f16_e32 v53, v31, v37
	v_lshl_add_u32 v41, v27, 1, 0
	v_lshl_add_u32 v44, v13, 1, 0
	;; [unrolled: 1-line block ×4, first 2 shown]
	v_pk_add_f16 v65, v61, v62
	v_pk_add_f16 v98, v66, v93
	ds_write2_b32 v40, v68, v69 offset0:2 offset1:3
	ds_write_b32 v40, v64 offset:16
	s_waitcnt lgkmcnt(0)
	s_barrier
	ds_read_u16 v88, v0 offset:4032
	ds_read_u16 v68, v10
	ds_read_u16 v94, v41
	;; [unrolled: 1-line block ×5, first 2 shown]
	ds_read_u16 v90, v0 offset:1152
	ds_read_u16 v87, v0 offset:1344
	;; [unrolled: 1-line block ×10, first 2 shown]
	ds_read_u16 v69, v15
	ds_read_u16 v64, v43
	ds_read_u16 v95, v0 offset:2112
	ds_read_u16 v73, v0 offset:1728
	;; [unrolled: 1-line block ×12, first 2 shown]
	s_waitcnt lgkmcnt(0)
	s_barrier
	ds_write2_b32 v63, v34, v29 offset0:2 offset1:3
	v_pack_b32_f16 v29, v92, v33
	v_alignbit_b32 v98, v98, v98, 16
	v_pack_b32_f16 v58, v58, v59
	ds_write_b32 v63, v29 offset:16
	v_alignbit_b32 v29, v65, v65, 16
	v_pack_b32_f16 v33, v51, v53
	v_pk_mul_f16 v55, v55, s8
	ds_write2_b32 v63, v58, v98 offset1:1
	ds_write2_b32 v39, v33, v29 offset1:1
	v_bfi_b32 v29, s0, v31, v61
	v_bfi_b32 v31, s0, v37, v62
	v_pk_fma_f16 v55, v57, s7, v55 op_sel:[0,0,1] op_sel_hi:[1,1,0] neg_lo:[0,0,1] neg_hi:[0,0,1]
	v_sub_f16_e32 v60, v61, v62
	v_pk_add_f16 v29, v29, v31 neg_lo:[0,1] neg_hi:[0,1]
	v_pack_b32_f16 v31, v38, v46
	v_add_f16_e32 v52, v32, v45
	v_pk_add_f16 v57, v54, v55
	ds_write2_b32 v39, v31, v29 offset0:2 offset1:3
	v_pack_b32_f16 v29, v60, v30
	ds_write_b32 v39, v29 offset:16
	v_alignbit_b32 v29, v57, v57, 16
	v_pack_b32_f16 v30, v50, v52
	ds_write2_b32 v40, v30, v29 offset1:1
	v_bfi_b32 v29, s0, v32, v54
	v_bfi_b32 v30, s0, v45, v55
	v_sub_f16_e32 v56, v54, v55
	v_pk_add_f16 v29, v29, v30 neg_lo:[0,1] neg_hi:[0,1]
	v_pack_b32_f16 v30, v47, v49
	ds_write2_b32 v40, v30, v29 offset0:2 offset1:3
	v_pack_b32_f16 v29, v56, v48
	s_movk_i32 s0, 0xcd
	ds_write_b32 v40, v29 offset:16
	v_mul_lo_u16_sdwa v29, v1, s0 dst_sel:DWORD dst_unused:UNUSED_PAD src0_sel:BYTE_0 src1_sel:DWORD
	v_lshrrev_b16_e32 v29, 11, v29
	v_mul_lo_u16_e32 v30, 10, v29
	v_sub_u16_e32 v30, v1, v30
	v_mov_b32_e32 v31, 5
	v_mul_u32_u24_sdwa v32, v30, v31 dst_sel:DWORD dst_unused:UNUSED_PAD src0_sel:BYTE_0 src1_sel:DWORD
	v_lshlrev_b32_e32 v37, 2, v32
	s_waitcnt lgkmcnt(0)
	s_barrier
	global_load_dwordx4 v[49:52], v37, s[12:13]
	v_mul_lo_u16_sdwa v32, v11, s0 dst_sel:DWORD dst_unused:UNUSED_PAD src0_sel:BYTE_0 src1_sel:DWORD
	v_lshrrev_b16_e32 v33, 11, v32
	v_mul_lo_u16_e32 v32, 10, v33
	v_sub_u16_e32 v34, v11, v32
	v_mul_u32_u24_sdwa v32, v34, v31 dst_sel:DWORD dst_unused:UNUSED_PAD src0_sel:BYTE_0 src1_sel:DWORD
	v_lshlrev_b32_e32 v38, 2, v32
	global_load_dwordx4 v[53:56], v38, s[12:13]
	s_mov_b32 s0, 0xcccd
	v_mul_u32_u24_sdwa v32, v17, s0 dst_sel:DWORD dst_unused:UNUSED_PAD src0_sel:WORD_0 src1_sel:DWORD
	v_lshrrev_b32_e32 v35, 19, v32
	v_mul_lo_u16_e32 v32, 10, v35
	v_sub_u16_e32 v36, v17, v32
	v_mul_u32_u24_e32 v32, 5, v36
	v_lshlrev_b32_e32 v45, 2, v32
	global_load_dwordx4 v[58:61], v45, s[12:13]
	ds_read_u16 v46, v0 offset:4032
	ds_read_u16 v48, v10
	ds_read_u16 v57, v41
	;; [unrolled: 1-line block ×4, first 2 shown]
	ds_read_u16 v63, v0 offset:1152
	ds_read_u16 v65, v0 offset:1344
	;; [unrolled: 1-line block ×10, first 2 shown]
	ds_read_u16 v32, v43
	ds_read_u16 v103, v0 offset:2112
	ds_read_u16 v104, v0 offset:1728
	;; [unrolled: 1-line block ×11, first 2 shown]
	global_load_dword v114, v37, s[12:13] offset:16
	s_movk_i32 s7, 0x3aee
	s_mov_b32 s6, 0xbaee
	v_mul_u32_u24_e32 v29, 0x78, v29
	v_lshlrev_b64 v[27:28], 2, v[27:28]
	s_waitcnt vmcnt(3) lgkmcnt(14)
	v_mul_f16_sdwa v37, v57, v49 dst_sel:DWORD dst_unused:UNUSED_PAD src0_sel:DWORD src1_sel:WORD_1
	v_fma_f16 v115, v94, v49, -v37
	v_mul_f16_sdwa v37, v94, v49 dst_sel:DWORD dst_unused:UNUSED_PAD src0_sel:DWORD src1_sel:WORD_1
	v_fma_f16 v57, v57, v49, v37
	v_mul_f16_sdwa v37, v62, v50 dst_sel:DWORD dst_unused:UNUSED_PAD src0_sel:DWORD src1_sel:WORD_1
	v_fma_f16 v94, v91, v50, -v37
	v_mul_f16_sdwa v37, v91, v50 dst_sel:DWORD dst_unused:UNUSED_PAD src0_sel:DWORD src1_sel:WORD_1
	v_fma_f16 v91, v62, v50, v37
	s_waitcnt lgkmcnt(6)
	v_mul_f16_sdwa v37, v107, v51 dst_sel:DWORD dst_unused:UNUSED_PAD src0_sel:DWORD src1_sel:WORD_1
	v_fma_f16 v116, v97, v51, -v37
	v_mul_f16_sdwa v37, v97, v51 dst_sel:DWORD dst_unused:UNUSED_PAD src0_sel:DWORD src1_sel:WORD_1
	v_fma_f16 v97, v107, v51, v37
	v_mul_f16_sdwa v37, v105, v52 dst_sel:DWORD dst_unused:UNUSED_PAD src0_sel:DWORD src1_sel:WORD_1
	v_fma_f16 v107, v96, v52, -v37
	v_mul_f16_sdwa v37, v96, v52 dst_sel:DWORD dst_unused:UNUSED_PAD src0_sel:DWORD src1_sel:WORD_1
	v_fma_f16 v96, v105, v52, v37
	s_waitcnt vmcnt(2)
	v_mul_f16_sdwa v37, v63, v53 dst_sel:DWORD dst_unused:UNUSED_PAD src0_sel:DWORD src1_sel:WORD_1
	v_fma_f16 v117, v90, v53, -v37
	v_mul_f16_sdwa v37, v90, v53 dst_sel:DWORD dst_unused:UNUSED_PAD src0_sel:DWORD src1_sel:WORD_1
	v_fma_f16 v90, v63, v53, v37
	v_mul_f16_sdwa v37, v103, v54 dst_sel:DWORD dst_unused:UNUSED_PAD src0_sel:DWORD src1_sel:WORD_1
	v_fma_f16 v118, v95, v54, -v37
	v_mul_f16_sdwa v37, v95, v54 dst_sel:DWORD dst_unused:UNUSED_PAD src0_sel:DWORD src1_sel:WORD_1
	v_fma_f16 v95, v103, v54, v37
	;; [unrolled: 4-line block ×4, first 2 shown]
	s_waitcnt vmcnt(1)
	v_mul_f16_sdwa v37, v65, v58 dst_sel:DWORD dst_unused:UNUSED_PAD src0_sel:DWORD src1_sel:WORD_1
	v_fma_f16 v63, v87, v58, -v37
	v_mul_f16_sdwa v37, v87, v58 dst_sel:DWORD dst_unused:UNUSED_PAD src0_sel:DWORD src1_sel:WORD_1
	v_fma_f16 v58, v65, v58, v37
	v_mul_u32_u24_sdwa v37, v23, s0 dst_sel:DWORD dst_unused:UNUSED_PAD src0_sel:WORD_0 src1_sel:DWORD
	v_lshrrev_b32_e32 v37, 19, v37
	global_load_dword v105, v38, s[12:13] offset:16
	global_load_dword v53, v45, s[12:13] offset:16
	v_mul_lo_u16_e32 v38, 10, v37
	v_sub_u16_e32 v38, v23, v38
	v_mul_u32_u24_e32 v45, 5, v38
	v_lshlrev_b32_e32 v45, 2, v45
	v_mul_f16_sdwa v46, v92, v59 dst_sel:DWORD dst_unused:UNUSED_PAD src0_sel:DWORD src1_sel:WORD_1
	global_load_dwordx4 v[49:52], v45, s[12:13]
	global_load_dword v54, v45, s[12:13] offset:16
	v_fma_f16 v87, v86, v59, -v46
	v_mul_f16_sdwa v46, v86, v59 dst_sel:DWORD dst_unused:UNUSED_PAD src0_sel:DWORD src1_sel:WORD_1
	v_fma_f16 v92, v92, v59, v46
	v_mul_f16_sdwa v46, v99, v60 dst_sel:DWORD dst_unused:UNUSED_PAD src0_sel:DWORD src1_sel:WORD_1
	v_fma_f16 v86, v85, v60, -v46
	v_mul_f16_sdwa v46, v85, v60 dst_sel:DWORD dst_unused:UNUSED_PAD src0_sel:DWORD src1_sel:WORD_1
	v_fma_f16 v85, v99, v60, v46
	v_mul_f16_sdwa v46, v101, v61 dst_sel:DWORD dst_unused:UNUSED_PAD src0_sel:DWORD src1_sel:WORD_1
	v_mul_u32_u24_sdwa v45, v25, s0 dst_sel:DWORD dst_unused:UNUSED_PAD src0_sel:WORD_0 src1_sel:DWORD
	v_fma_f16 v99, v84, v61, -v46
	v_mul_f16_sdwa v46, v84, v61 dst_sel:DWORD dst_unused:UNUSED_PAD src0_sel:DWORD src1_sel:WORD_1
	v_lshrrev_b32_e32 v45, 19, v45
	v_fma_f16 v101, v101, v61, v46
	v_mul_lo_u16_e32 v46, 10, v45
	v_sub_u16_e32 v46, v25, v46
	v_mul_u32_u24_e32 v55, 5, v46
	v_lshlrev_b32_e32 v55, 2, v55
	global_load_dwordx4 v[59:62], v55, s[12:13]
	global_load_dword v65, v55, s[12:13] offset:16
	ds_read_u16 v55, v0 offset:4800
	ds_read_u16 v119, v15
	ds_read_u16 v120, v0
	s_waitcnt vmcnt(0) lgkmcnt(0)
	s_barrier
	v_mul_f16_sdwa v56, v55, v114 dst_sel:DWORD dst_unused:UNUSED_PAD src0_sel:DWORD src1_sel:WORD_1
	v_fma_f16 v121, v83, v114, -v56
	v_mul_f16_sdwa v56, v83, v114 dst_sel:DWORD dst_unused:UNUSED_PAD src0_sel:DWORD src1_sel:WORD_1
	v_fma_f16 v114, v55, v114, v56
	v_cmp_gt_u32_e64 s[0:1], 60, v1
	v_mul_f16_sdwa v55, v109, v105 dst_sel:DWORD dst_unused:UNUSED_PAD src0_sel:DWORD src1_sel:WORD_1
	v_fma_f16 v122, v82, v105, -v55
	v_mul_f16_sdwa v55, v82, v105 dst_sel:DWORD dst_unused:UNUSED_PAD src0_sel:DWORD src1_sel:WORD_1
	v_fma_f16 v105, v109, v105, v55
	v_mul_f16_sdwa v55, v110, v53 dst_sel:DWORD dst_unused:UNUSED_PAD src0_sel:DWORD src1_sel:WORD_1
	v_fma_f16 v109, v81, v53, -v55
	v_mul_f16_sdwa v55, v81, v53 dst_sel:DWORD dst_unused:UNUSED_PAD src0_sel:DWORD src1_sel:WORD_1
	v_fma_f16 v81, v110, v53, v55
	;; [unrolled: 4-line block ×6, first 2 shown]
	v_mul_f16_sdwa v49, v111, v54 dst_sel:DWORD dst_unused:UNUSED_PAD src0_sel:DWORD src1_sel:WORD_1
	v_mul_f16_sdwa v50, v72, v61 dst_sel:DWORD dst_unused:UNUSED_PAD src0_sel:DWORD src1_sel:WORD_1
	v_fma_f16 v127, v80, v54, -v49
	v_mul_f16_sdwa v49, v80, v54 dst_sel:DWORD dst_unused:UNUSED_PAD src0_sel:DWORD src1_sel:WORD_1
	v_fma_f16 v56, v106, v61, v50
	v_mul_f16_sdwa v50, v113, v62 dst_sel:DWORD dst_unused:UNUSED_PAD src0_sel:DWORD src1_sel:WORD_1
	v_fma_f16 v111, v111, v54, v49
	v_mul_f16_sdwa v49, v104, v59 dst_sel:DWORD dst_unused:UNUSED_PAD src0_sel:DWORD src1_sel:WORD_1
	v_fma_f16 v82, v74, v62, -v50
	v_mul_f16_sdwa v50, v74, v62 dst_sel:DWORD dst_unused:UNUSED_PAD src0_sel:DWORD src1_sel:WORD_1
	v_fma_f16 v55, v73, v59, -v49
	v_mul_f16_sdwa v49, v73, v59 dst_sel:DWORD dst_unused:UNUSED_PAD src0_sel:DWORD src1_sel:WORD_1
	v_fma_f16 v83, v113, v62, v50
	v_mul_f16_sdwa v50, v112, v65 dst_sel:DWORD dst_unused:UNUSED_PAD src0_sel:DWORD src1_sel:WORD_1
	v_fma_f16 v51, v104, v59, v49
	v_mul_f16_sdwa v49, v108, v60 dst_sel:DWORD dst_unused:UNUSED_PAD src0_sel:DWORD src1_sel:WORD_1
	v_fma_f16 v77, v71, v65, -v50
	v_mul_f16_sdwa v50, v71, v65 dst_sel:DWORD dst_unused:UNUSED_PAD src0_sel:DWORD src1_sel:WORD_1
	v_fma_f16 v76, v75, v60, -v49
	v_mul_f16_sdwa v49, v75, v60 dst_sel:DWORD dst_unused:UNUSED_PAD src0_sel:DWORD src1_sel:WORD_1
	v_fma_f16 v84, v112, v65, v50
	v_add_f16_e32 v50, v70, v94
	v_fma_f16 v79, v108, v60, v49
	v_add_f16_e32 v60, v50, v107
	v_add_f16_e32 v50, v94, v107
	v_mul_f16_sdwa v49, v106, v61 dst_sel:DWORD dst_unused:UNUSED_PAD src0_sel:DWORD src1_sel:WORD_1
	v_fma_f16 v50, v50, -0.5, v70
	v_sub_f16_e32 v52, v91, v96
	v_fma_f16 v49, v72, v61, -v49
	v_fma_f16 v61, v52, s7, v50
	v_fma_f16 v62, v52, s6, v50
	v_add_f16_e32 v50, v120, v91
	v_add_f16_e32 v66, v50, v96
	v_add_f16_e32 v50, v91, v96
	v_fma_f16 v50, v50, -0.5, v120
	v_sub_f16_e32 v52, v94, v107
	v_fma_f16 v70, v52, s6, v50
	v_fma_f16 v71, v52, s7, v50
	v_add_f16_e32 v50, v115, v116
	v_add_f16_e32 v65, v50, v121
	v_add_f16_e32 v50, v116, v121
	v_fma_f16 v50, v50, -0.5, v115
	v_sub_f16_e32 v52, v97, v114
	;; [unrolled: 7-line block ×3, first 2 shown]
	v_fma_f16 v57, v52, s6, v50
	v_fma_f16 v74, v52, s7, v50
	v_mul_f16_e32 v52, 0x3aee, v57
	v_fma_f16 v75, v59, 0.5, v52
	v_mul_f16_e32 v59, 0xbaee, v59
	v_mul_f16_e32 v53, -0.5, v72
	v_fma_f16 v80, v57, 0.5, v59
	v_mul_f16_e32 v59, -0.5, v74
	v_add_f16_e32 v50, v60, v65
	v_fma_f16 v78, v74, s7, v53
	v_add_f16_e32 v53, v66, v73
	v_fma_f16 v72, v72, s6, v59
	v_sub_f16_e32 v65, v60, v65
	v_sub_f16_e32 v60, v66, v73
	v_add_f16_e32 v66, v69, v118
	v_add_f16_e32 v52, v61, v75
	;; [unrolled: 1-line block ×4, first 2 shown]
	v_sub_f16_e32 v74, v61, v75
	v_sub_f16_e32 v75, v62, v78
	;; [unrolled: 1-line block ×3, first 2 shown]
	v_add_f16_e32 v71, v66, v98
	v_add_f16_e32 v66, v118, v98
	v_fma_f16 v66, v66, -0.5, v69
	v_sub_f16_e32 v69, v95, v88
	v_fma_f16 v72, v69, s7, v66
	v_fma_f16 v73, v69, s6, v66
	v_add_f16_e32 v66, v119, v95
	v_add_f16_e32 v78, v66, v88
	;; [unrolled: 1-line block ×3, first 2 shown]
	v_fma_f16 v66, v66, -0.5, v119
	v_sub_f16_e32 v69, v118, v98
	v_add_f16_e32 v57, v70, v80
	v_sub_f16_e32 v61, v70, v80
	v_fma_f16 v80, v69, s6, v66
	v_fma_f16 v88, v69, s7, v66
	v_add_f16_e32 v66, v117, v103
	v_add_f16_e32 v91, v66, v122
	;; [unrolled: 1-line block ×3, first 2 shown]
	v_fma_f16 v66, v66, -0.5, v117
	v_sub_f16_e32 v69, v89, v105
	v_fma_f16 v70, v69, s7, v66
	v_fma_f16 v94, v69, s6, v66
	v_add_f16_e32 v66, v90, v89
	v_add_f16_e32 v95, v66, v105
	v_add_f16_e32 v66, v89, v105
	v_fma_f16 v66, v66, -0.5, v90
	v_sub_f16_e32 v69, v103, v122
	v_fma_f16 v89, v69, s6, v66
	v_fma_f16 v90, v69, s7, v66
	v_mul_f16_e32 v66, 0x3aee, v89
	v_fma_f16 v97, v70, 0.5, v66
	v_mul_f16_e32 v66, -0.5, v94
	v_mul_f16_e32 v69, 0xbaee, v70
	v_mul_f16_e32 v70, -0.5, v90
	v_add_f16_e32 v96, v71, v91
	v_fma_f16 v103, v90, s7, v66
	v_add_f16_e32 v66, v78, v95
	v_fma_f16 v90, v94, s6, v70
	v_sub_f16_e32 v91, v71, v91
	v_sub_f16_e32 v71, v78, v95
	v_add_f16_e32 v78, v68, v87
	v_add_f16_e32 v98, v72, v97
	v_add_f16_e32 v104, v73, v103
	v_add_f16_e32 v70, v88, v90
	v_sub_f16_e32 v94, v72, v97
	v_sub_f16_e32 v97, v73, v103
	;; [unrolled: 1-line block ×3, first 2 shown]
	v_add_f16_e32 v88, v78, v99
	v_add_f16_e32 v78, v87, v99
	v_fma_f16 v89, v89, 0.5, v69
	v_fma_f16 v68, v78, -0.5, v68
	v_sub_f16_e32 v78, v92, v101
	v_add_f16_e32 v69, v80, v89
	v_sub_f16_e32 v72, v80, v89
	v_fma_f16 v89, v78, s7, v68
	v_fma_f16 v68, v78, s6, v68
	v_add_f16_e32 v78, v48, v92
	v_add_f16_e32 v90, v78, v101
	v_add_f16_e32 v78, v92, v101
	v_fma_f16 v48, v78, -0.5, v48
	v_sub_f16_e32 v78, v87, v99
	v_fma_f16 v87, v78, s6, v48
	v_fma_f16 v48, v78, s7, v48
	v_add_f16_e32 v78, v63, v86
	v_add_f16_e32 v92, v78, v109
	v_add_f16_e32 v78, v86, v109
	v_fma_f16 v63, v78, -0.5, v63
	;; [unrolled: 7-line block ×3, first 2 shown]
	v_sub_f16_e32 v78, v86, v109
	v_fma_f16 v81, v78, s6, v58
	v_fma_f16 v58, v78, s7, v58
	v_mul_f16_e32 v78, 0x3aee, v81
	v_fma_f16 v85, v80, 0.5, v78
	v_mul_f16_e32 v78, -0.5, v63
	v_fma_f16 v86, v58, s7, v78
	v_mul_f16_e32 v80, 0xbaee, v80
	v_mul_f16_e32 v58, -0.5, v58
	v_fma_f16 v105, v81, 0.5, v80
	v_fma_f16 v58, v63, s6, v58
	v_add_f16_e32 v103, v68, v86
	v_add_f16_e32 v80, v87, v105
	;; [unrolled: 1-line block ×3, first 2 shown]
	v_sub_f16_e32 v68, v68, v86
	v_sub_f16_e32 v86, v87, v105
	;; [unrolled: 1-line block ×3, first 2 shown]
	v_add_f16_e32 v58, v124, v126
	v_add_f16_e32 v48, v67, v124
	v_fma_f16 v58, v58, -0.5, v67
	v_sub_f16_e32 v67, v93, v102
	v_add_f16_e32 v99, v88, v92
	v_add_f16_e32 v101, v89, v85
	v_add_f16_e32 v78, v90, v95
	v_sub_f16_e32 v63, v88, v92
	v_sub_f16_e32 v88, v89, v85
	v_sub_f16_e32 v85, v90, v95
	v_fma_f16 v89, v67, s7, v58
	v_fma_f16 v58, v67, s6, v58
	v_add_f16_e32 v67, v47, v93
	v_add_f16_e32 v90, v93, v102
	;; [unrolled: 1-line block ×3, first 2 shown]
	v_fma_f16 v93, v93, -0.5, v110
	v_sub_f16_e32 v95, v100, v111
	v_add_f16_e32 v67, v67, v102
	v_fma_f16 v102, v95, s7, v93
	v_fma_f16 v93, v95, s6, v93
	v_add_f16_e32 v95, v123, v100
	v_add_f16_e32 v100, v100, v111
	v_fma_f16 v47, v90, -0.5, v47
	v_sub_f16_e32 v90, v124, v126
	v_fma_f16 v100, v100, -0.5, v123
	v_sub_f16_e32 v105, v125, v127
	v_fma_f16 v92, v90, s6, v47
	v_fma_f16 v47, v90, s7, v47
	v_add_f16_e32 v90, v110, v125
	v_fma_f16 v106, v105, s6, v100
	v_fma_f16 v100, v105, s7, v100
	v_mul_f16_e32 v109, -0.5, v93
	v_add_f16_e32 v48, v48, v126
	v_add_f16_e32 v90, v90, v127
	;; [unrolled: 1-line block ×3, first 2 shown]
	v_fma_f16 v109, v100, s7, v109
	v_mul_f16_e32 v100, -0.5, v100
	v_add_f16_e32 v105, v48, v90
	v_add_f16_e32 v111, v67, v95
	v_fma_f16 v93, v93, s6, v100
	v_sub_f16_e32 v48, v48, v90
	v_sub_f16_e32 v90, v67, v95
	v_add_f16_e32 v67, v76, v82
	v_add_f16_e32 v100, v47, v93
	v_sub_f16_e32 v93, v47, v93
	v_add_f16_e32 v47, v64, v76
	v_fma_f16 v64, v67, -0.5, v64
	v_sub_f16_e32 v67, v79, v83
	v_fma_f16 v95, v67, s7, v64
	v_fma_f16 v64, v67, s6, v64
	v_add_f16_e32 v67, v32, v79
	v_add_f16_e32 v79, v79, v83
	;; [unrolled: 1-line block ×3, first 2 shown]
	v_fma_f16 v32, v79, -0.5, v32
	v_sub_f16_e32 v76, v76, v82
	v_add_f16_e32 v82, v49, v77
	v_mul_f16_e32 v107, 0x3aee, v106
	v_fma_f16 v79, v76, s6, v32
	v_fma_f16 v32, v76, s7, v32
	v_add_f16_e32 v76, v55, v49
	v_fma_f16 v55, v82, -0.5, v55
	v_sub_f16_e32 v82, v56, v84
	v_fma_f16 v107, v102, 0.5, v107
	v_mul_f16_e32 v102, 0xbaee, v102
	v_add_f16_e32 v67, v67, v83
	v_fma_f16 v83, v82, s7, v55
	v_fma_f16 v55, v82, s6, v55
	v_add_f16_e32 v82, v51, v56
	v_add_f16_e32 v56, v56, v84
	v_fma_f16 v102, v106, 0.5, v102
	v_fma_f16 v51, v56, -0.5, v51
	v_sub_f16_e32 v49, v49, v77
	v_add_f16_e32 v106, v92, v102
	v_sub_f16_e32 v92, v92, v102
	v_fma_f16 v56, v49, s6, v51
	v_fma_f16 v49, v49, s7, v51
	v_mul_f16_e32 v102, -0.5, v55
	v_fma_f16 v102, v49, s7, v102
	v_mul_f16_e32 v49, -0.5, v49
	v_fma_f16 v49, v55, s6, v49
	v_add_f16_e32 v113, v32, v49
	v_sub_f16_e32 v114, v32, v49
	v_mov_b32_e32 v32, 1
	v_lshlrev_b32_sdwa v30, v32, v30 dst_sel:DWORD dst_unused:UNUSED_PAD src0_sel:DWORD src1_sel:BYTE_0
	v_add3_u32 v29, 0, v29, v30
	v_mul_u32_u24_e32 v30, 0x78, v33
	v_lshlrev_b32_sdwa v33, v32, v34 dst_sel:DWORD dst_unused:UNUSED_PAD src0_sel:DWORD src1_sel:BYTE_0
	v_add3_u32 v30, 0, v30, v33
	v_mul_u32_u24_e32 v33, 0x78, v35
	v_lshlrev_b32_e32 v34, 1, v36
	v_add_f16_e32 v76, v76, v77
	v_mul_f16_e32 v77, 0x3aee, v56
	ds_write_b16 v29, v50
	ds_write_b16 v29, v52 offset:20
	ds_write_b16 v29, v54 offset:40
	;; [unrolled: 1-line block ×5, first 2 shown]
	ds_write_b16 v30, v96
	ds_write_b16 v30, v98 offset:20
	ds_write_b16 v30, v104 offset:40
	;; [unrolled: 1-line block ×5, first 2 shown]
	v_add3_u32 v91, 0, v33, v34
	v_mul_u32_u24_e32 v33, 0x78, v37
	v_lshlrev_b32_e32 v34, 1, v38
	v_add_f16_e32 v108, v89, v107
	v_sub_f16_e32 v89, v89, v107
	v_fma_f16 v77, v83, 0.5, v77
	v_mul_f16_e32 v83, 0xbaee, v83
	ds_write_b16 v91, v99
	ds_write_b16 v91, v101 offset:20
	ds_write_b16 v91, v103 offset:40
	;; [unrolled: 1-line block ×5, first 2 shown]
	v_add3_u32 v88, 0, v33, v34
	v_mul_u32_u24_e32 v33, 0x78, v45
	v_lshlrev_b32_e32 v34, 1, v46
	v_add_f16_e32 v110, v58, v109
	v_sub_f16_e32 v58, v58, v109
	v_add_f16_e32 v82, v82, v84
	v_add_f16_e32 v51, v47, v76
	v_add_f16_e32 v107, v64, v102
	v_fma_f16 v56, v56, 0.5, v83
	v_sub_f16_e32 v47, v47, v76
	v_sub_f16_e32 v55, v95, v77
	;; [unrolled: 1-line block ×3, first 2 shown]
	ds_write_b16 v88, v105
	ds_write_b16 v88, v108 offset:20
	ds_write_b16 v88, v110 offset:40
	;; [unrolled: 1-line block ×5, first 2 shown]
	v_add3_u32 v89, 0, v33, v34
	v_add_f16_e32 v84, v95, v77
	v_add_f16_e32 v109, v67, v82
	;; [unrolled: 1-line block ×3, first 2 shown]
	v_sub_f16_e32 v95, v67, v82
	v_sub_f16_e32 v102, v79, v56
	ds_write_b16 v89, v51
	ds_write_b16 v89, v84 offset:20
	ds_write_b16 v89, v107 offset:40
	;; [unrolled: 1-line block ×5, first 2 shown]
	s_waitcnt lgkmcnt(0)
	s_barrier
	ds_read_u16 v68, v0 offset:4032
	ds_read_u16 v35, v10
	ds_read_u16 v76, v41
	;; [unrolled: 1-line block ×5, first 2 shown]
	ds_read_u16 v75, v0 offset:1152
	ds_read_u16 v67, v0 offset:1344
	;; [unrolled: 1-line block ×10, first 2 shown]
	ds_read_u16 v36, v15
	ds_read_u16 v33, v43
	ds_read_u16 v79, v0 offset:2112
	ds_read_u16 v47, v0 offset:1728
	;; [unrolled: 1-line block ×12, first 2 shown]
	s_waitcnt lgkmcnt(0)
	s_barrier
	ds_write_b16 v29, v53
	ds_write_b16 v29, v57 offset:20
	ds_write_b16 v29, v59 offset:40
	ds_write_b16 v29, v60 offset:60
	ds_write_b16 v29, v61 offset:80
	ds_write_b16 v29, v62 offset:100
	ds_write_b16 v30, v66
	ds_write_b16 v30, v69 offset:20
	ds_write_b16 v30, v70 offset:40
	ds_write_b16 v30, v71 offset:60
	ds_write_b16 v30, v72 offset:80
	ds_write_b16 v30, v73 offset:100
	;; [unrolled: 6-line block ×5, first 2 shown]
	v_subrev_u32_e32 v29, 60, v1
	v_cndmask_b32_e64 v57, v29, v1, s[0:1]
	v_mul_i32_i24_e32 v29, 5, v57
	v_mov_b32_e32 v30, 0
	v_lshlrev_b64 v[59:60], 2, v[29:30]
	v_mov_b32_e32 v53, s13
	v_add_co_u32_e64 v61, s[0:1], s12, v59
	v_addc_co_u32_e64 v62, s[0:1], v53, v60, s[0:1]
	s_waitcnt lgkmcnt(0)
	s_barrier
	global_load_dwordx4 v[69:72], v[61:62], off offset:200
	s_movk_i32 s0, 0x89
	v_mul_lo_u16_sdwa v29, v11, s0 dst_sel:DWORD dst_unused:UNUSED_PAD src0_sel:BYTE_0 src1_sel:DWORD
	v_lshrrev_b16_e32 v29, 13, v29
	v_mul_lo_u16_e32 v59, 60, v29
	v_sub_u16_e32 v59, v11, v59
	v_mul_u32_u24_sdwa v31, v59, v31 dst_sel:DWORD dst_unused:UNUSED_PAD src0_sel:BYTE_0 src1_sel:DWORD
	v_lshlrev_b32_e32 v66, 2, v31
	global_load_dwordx4 v[84:87], v66, s[12:13] offset:200
	s_mov_b32 s0, 0x8889
	v_mul_u32_u24_sdwa v31, v17, s0 dst_sel:DWORD dst_unused:UNUSED_PAD src0_sel:WORD_0 src1_sel:DWORD
	v_lshrrev_b32_e32 v31, 21, v31
	v_mul_lo_u16_e32 v60, 60, v31
	v_sub_u16_e32 v60, v17, v60
	v_mul_u32_u24_e32 v73, 5, v60
	v_lshlrev_b32_e32 v73, 2, v73
	global_load_dwordx4 v[88:91], v73, s[12:13] offset:200
	ds_read_u16 v78, v0 offset:4032
	ds_read_u16 v80, v10
	ds_read_u16 v81, v41
	;; [unrolled: 1-line block ×4, first 2 shown]
	ds_read_u16 v94, v0 offset:1152
	ds_read_u16 v95, v0 offset:1344
	;; [unrolled: 1-line block ×10, first 2 shown]
	ds_read_u16 v104, v43
	ds_read_u16 v105, v0 offset:2112
	ds_read_u16 v106, v0 offset:1728
	;; [unrolled: 1-line block ×11, first 2 shown]
	global_load_dword v116, v[61:62], off offset:216
	v_mul_u32_u24_e32 v29, 0x2d0, v29
	global_load_dword v73, v73, s[12:13] offset:216
	v_lshlrev_b32_sdwa v32, v32, v59 dst_sel:DWORD dst_unused:UNUSED_PAD src0_sel:DWORD src1_sel:BYTE_0
	v_add3_u32 v29, 0, v29, v32
	v_mul_u32_u24_e32 v31, 0x2d0, v31
	v_lshlrev_b32_e32 v32, 1, v60
	v_add3_u32 v31, 0, v31, v32
	s_waitcnt vmcnt(4) lgkmcnt(14)
	v_mul_f16_sdwa v61, v81, v69 dst_sel:DWORD dst_unused:UNUSED_PAD src0_sel:DWORD src1_sel:WORD_1
	v_fma_f16 v117, v76, v69, -v61
	v_mul_f16_sdwa v61, v76, v69 dst_sel:DWORD dst_unused:UNUSED_PAD src0_sel:DWORD src1_sel:WORD_1
	v_fma_f16 v76, v81, v69, v61
	v_mul_f16_sdwa v61, v92, v70 dst_sel:DWORD dst_unused:UNUSED_PAD src0_sel:DWORD src1_sel:WORD_1
	v_fma_f16 v81, v74, v70, -v61
	v_mul_f16_sdwa v61, v74, v70 dst_sel:DWORD dst_unused:UNUSED_PAD src0_sel:DWORD src1_sel:WORD_1
	v_fma_f16 v70, v92, v70, v61
	s_waitcnt lgkmcnt(6)
	v_mul_f16_sdwa v61, v109, v71 dst_sel:DWORD dst_unused:UNUSED_PAD src0_sel:DWORD src1_sel:WORD_1
	v_fma_f16 v74, v83, v71, -v61
	v_mul_f16_sdwa v61, v83, v71 dst_sel:DWORD dst_unused:UNUSED_PAD src0_sel:DWORD src1_sel:WORD_1
	v_fma_f16 v71, v109, v71, v61
	v_mul_f16_sdwa v61, v107, v72 dst_sel:DWORD dst_unused:UNUSED_PAD src0_sel:DWORD src1_sel:WORD_1
	v_fma_f16 v83, v82, v72, -v61
	v_mul_f16_sdwa v61, v82, v72 dst_sel:DWORD dst_unused:UNUSED_PAD src0_sel:DWORD src1_sel:WORD_1
	v_fma_f16 v72, v107, v72, v61
	s_waitcnt vmcnt(3)
	v_mul_f16_sdwa v61, v94, v84 dst_sel:DWORD dst_unused:UNUSED_PAD src0_sel:DWORD src1_sel:WORD_1
	v_fma_f16 v92, v75, v84, -v61
	v_mul_f16_sdwa v61, v75, v84 dst_sel:DWORD dst_unused:UNUSED_PAD src0_sel:DWORD src1_sel:WORD_1
	v_fma_f16 v75, v94, v84, v61
	v_mul_f16_sdwa v61, v105, v85 dst_sel:DWORD dst_unused:UNUSED_PAD src0_sel:DWORD src1_sel:WORD_1
	v_fma_f16 v84, v79, v85, -v61
	v_mul_f16_sdwa v61, v79, v85 dst_sel:DWORD dst_unused:UNUSED_PAD src0_sel:DWORD src1_sel:WORD_1
	v_fma_f16 v79, v105, v85, v61
	;; [unrolled: 4-line block ×4, first 2 shown]
	s_waitcnt vmcnt(2)
	v_mul_f16_sdwa v61, v95, v88 dst_sel:DWORD dst_unused:UNUSED_PAD src0_sel:DWORD src1_sel:WORD_1
	v_fma_f16 v87, v67, v88, -v61
	v_mul_f16_sdwa v61, v67, v88 dst_sel:DWORD dst_unused:UNUSED_PAD src0_sel:DWORD src1_sel:WORD_1
	v_fma_f16 v88, v95, v88, v61
	v_mul_u32_u24_sdwa v61, v23, s0 dst_sel:DWORD dst_unused:UNUSED_PAD src0_sel:WORD_0 src1_sel:DWORD
	v_lshrrev_b32_e32 v94, 21, v61
	global_load_dword v82, v66, s[12:13] offset:216
	v_mul_lo_u16_e32 v61, 60, v94
	v_sub_u16_e32 v95, v23, v61
	v_mul_u32_u24_e32 v61, 5, v95
	v_lshlrev_b32_e32 v61, 2, v61
	v_mul_f16_sdwa v62, v97, v89 dst_sel:DWORD dst_unused:UNUSED_PAD src0_sel:DWORD src1_sel:WORD_1
	global_load_dwordx4 v[66:69], v61, s[12:13] offset:200
	v_fma_f16 v99, v63, v89, -v62
	v_mul_f16_sdwa v62, v63, v89 dst_sel:DWORD dst_unused:UNUSED_PAD src0_sel:DWORD src1_sel:WORD_1
	v_fma_f16 v89, v97, v89, v62
	v_mul_f16_sdwa v62, v100, v90 dst_sel:DWORD dst_unused:UNUSED_PAD src0_sel:DWORD src1_sel:WORD_1
	v_fma_f16 v97, v64, v90, -v62
	v_mul_f16_sdwa v62, v64, v90 dst_sel:DWORD dst_unused:UNUSED_PAD src0_sel:DWORD src1_sel:WORD_1
	v_fma_f16 v90, v100, v90, v62
	v_mul_f16_sdwa v62, v102, v91 dst_sel:DWORD dst_unused:UNUSED_PAD src0_sel:DWORD src1_sel:WORD_1
	v_fma_f16 v100, v65, v91, -v62
	v_mul_f16_sdwa v62, v65, v91 dst_sel:DWORD dst_unused:UNUSED_PAD src0_sel:DWORD src1_sel:WORD_1
	v_fma_f16 v65, v102, v91, v62
	global_load_dword v91, v61, s[12:13] offset:216
	v_mul_u32_u24_sdwa v61, v25, s0 dst_sel:DWORD dst_unused:UNUSED_PAD src0_sel:WORD_0 src1_sel:DWORD
	v_lshrrev_b32_e32 v102, 21, v61
	v_mul_lo_u16_e32 v61, 60, v102
	v_sub_u16_e32 v105, v25, v61
	v_mul_u32_u24_e32 v61, 5, v105
	v_lshlrev_b32_e32 v107, 2, v61
	global_load_dwordx4 v[61:64], v107, s[12:13] offset:200
	global_load_dword v109, v107, s[12:13] offset:216
	ds_read_u16 v107, v0 offset:4800
	v_cmp_lt_u32_e64 s[0:1], 59, v1
	v_mul_u32_u24_e32 v32, 0x2d0, v94
	v_lshlrev_b64 v[25:26], 2, v[25:26]
	s_waitcnt vmcnt(6) lgkmcnt(0)
	v_mul_f16_sdwa v118, v107, v116 dst_sel:DWORD dst_unused:UNUSED_PAD src0_sel:DWORD src1_sel:WORD_1
	v_fma_f16 v118, v58, v116, -v118
	v_mul_f16_sdwa v58, v58, v116 dst_sel:DWORD dst_unused:UNUSED_PAD src0_sel:DWORD src1_sel:WORD_1
	v_fma_f16 v58, v107, v116, v58
	ds_read_u16 v107, v15
	s_waitcnt vmcnt(4)
	v_mul_f16_sdwa v116, v111, v82 dst_sel:DWORD dst_unused:UNUSED_PAD src0_sel:DWORD src1_sel:WORD_1
	v_fma_f16 v116, v56, v82, -v116
	v_mul_f16_sdwa v56, v56, v82 dst_sel:DWORD dst_unused:UNUSED_PAD src0_sel:DWORD src1_sel:WORD_1
	v_fma_f16 v56, v111, v82, v56
	ds_read_u16 v82, v0
	v_mul_f16_sdwa v111, v112, v73 dst_sel:DWORD dst_unused:UNUSED_PAD src0_sel:DWORD src1_sel:WORD_1
	v_fma_f16 v111, v55, v73, -v111
	v_mul_f16_sdwa v55, v55, v73 dst_sel:DWORD dst_unused:UNUSED_PAD src0_sel:DWORD src1_sel:WORD_1
	v_fma_f16 v55, v112, v73, v55
	s_waitcnt vmcnt(3)
	v_mul_f16_sdwa v73, v96, v66 dst_sel:DWORD dst_unused:UNUSED_PAD src0_sel:DWORD src1_sel:WORD_1
	v_fma_f16 v73, v48, v66, -v73
	v_mul_f16_sdwa v48, v48, v66 dst_sel:DWORD dst_unused:UNUSED_PAD src0_sel:DWORD src1_sel:WORD_1
	v_fma_f16 v48, v96, v66, v48
	v_mul_f16_sdwa v66, v98, v67 dst_sel:DWORD dst_unused:UNUSED_PAD src0_sel:DWORD src1_sel:WORD_1
	v_fma_f16 v66, v45, v67, -v66
	v_mul_f16_sdwa v45, v45, v67 dst_sel:DWORD dst_unused:UNUSED_PAD src0_sel:DWORD src1_sel:WORD_1
	v_fma_f16 v45, v98, v67, v45
	;; [unrolled: 4-line block ×4, first 2 shown]
	s_waitcnt vmcnt(2)
	v_mul_f16_sdwa v69, v113, v91 dst_sel:DWORD dst_unused:UNUSED_PAD src0_sel:DWORD src1_sel:WORD_1
	v_add_f16_e32 v98, v81, v83
	v_fma_f16 v69, v54, v91, -v69
	v_mul_f16_sdwa v54, v54, v91 dst_sel:DWORD dst_unused:UNUSED_PAD src0_sel:DWORD src1_sel:WORD_1
	v_add_f16_e32 v96, v37, v81
	v_fma_f16 v37, v98, -0.5, v37
	v_sub_f16_e32 v98, v70, v72
	v_fma_f16 v54, v113, v91, v54
	s_waitcnt vmcnt(1)
	v_mul_f16_sdwa v91, v106, v61 dst_sel:DWORD dst_unused:UNUSED_PAD src0_sel:DWORD src1_sel:WORD_1
	v_fma_f16 v101, v98, s7, v37
	v_fma_f16 v37, v98, s6, v37
	s_waitcnt lgkmcnt(0)
	v_add_f16_e32 v98, v82, v70
	v_add_f16_e32 v70, v70, v72
	v_fma_f16 v91, v47, v61, -v91
	v_mul_f16_sdwa v47, v47, v61 dst_sel:DWORD dst_unused:UNUSED_PAD src0_sel:DWORD src1_sel:WORD_1
	v_fma_f16 v70, v70, -0.5, v82
	v_add_f16_e32 v82, v74, v118
	v_fma_f16 v47, v106, v61, v47
	v_mul_f16_sdwa v61, v110, v62 dst_sel:DWORD dst_unused:UNUSED_PAD src0_sel:DWORD src1_sel:WORD_1
	v_add_f16_e32 v96, v96, v83
	v_add_f16_e32 v98, v98, v72
	v_sub_f16_e32 v72, v81, v83
	v_fma_f16 v82, v82, -0.5, v117
	v_sub_f16_e32 v83, v71, v58
	v_fma_f16 v61, v51, v62, -v61
	v_mul_f16_sdwa v51, v51, v62 dst_sel:DWORD dst_unused:UNUSED_PAD src0_sel:DWORD src1_sel:WORD_1
	v_fma_f16 v103, v83, s7, v82
	v_fma_f16 v82, v83, s6, v82
	v_add_f16_e32 v83, v76, v71
	v_fma_f16 v51, v110, v62, v51
	v_mul_f16_sdwa v62, v108, v63 dst_sel:DWORD dst_unused:UNUSED_PAD src0_sel:DWORD src1_sel:WORD_1
	v_add_f16_e32 v83, v83, v58
	v_add_f16_e32 v58, v71, v58
	v_fma_f16 v62, v38, v63, -v62
	v_mul_f16_sdwa v38, v38, v63 dst_sel:DWORD dst_unused:UNUSED_PAD src0_sel:DWORD src1_sel:WORD_1
	v_fma_f16 v58, v58, -0.5, v76
	v_sub_f16_e32 v71, v74, v118
	v_fma_f16 v38, v108, v63, v38
	v_fma_f16 v81, v72, s6, v70
	;; [unrolled: 1-line block ×3, first 2 shown]
	v_add_f16_e32 v72, v117, v74
	v_fma_f16 v74, v71, s6, v58
	v_fma_f16 v58, v71, s7, v58
	v_mul_f16_e32 v108, -0.5, v82
	v_fma_f16 v108, v58, s7, v108
	v_mul_f16_e32 v58, -0.5, v58
	v_mul_f16_e32 v76, 0x3aee, v74
	v_fma_f16 v58, v82, s6, v58
	v_fma_f16 v76, v103, 0.5, v76
	v_add_f16_e32 v110, v98, v83
	v_mul_f16_e32 v103, 0xbaee, v103
	v_add_f16_e32 v82, v70, v58
	v_sub_f16_e32 v83, v98, v83
	v_sub_f16_e32 v98, v70, v58
	v_add_f16_e32 v70, v84, v86
	v_add_f16_e32 v72, v72, v118
	v_fma_f16 v74, v74, 0.5, v103
	v_add_f16_e32 v58, v36, v84
	v_fma_f16 v36, v70, -0.5, v36
	v_sub_f16_e32 v70, v79, v78
	v_add_f16_e32 v71, v96, v72
	v_add_f16_e32 v103, v81, v74
	v_sub_f16_e32 v72, v96, v72
	v_sub_f16_e32 v96, v81, v74
	v_fma_f16 v74, v70, s7, v36
	v_fma_f16 v36, v70, s6, v36
	v_add_f16_e32 v70, v107, v79
	v_add_f16_e32 v70, v70, v78
	;; [unrolled: 1-line block ×3, first 2 shown]
	v_sub_f16_e32 v79, v84, v86
	v_add_f16_e32 v84, v85, v116
	v_add_f16_e32 v58, v58, v86
	v_fma_f16 v78, v78, -0.5, v107
	v_fma_f16 v84, v84, -0.5, v92
	v_sub_f16_e32 v86, v77, v56
	v_fma_f16 v81, v79, s6, v78
	v_fma_f16 v78, v79, s7, v78
	v_add_f16_e32 v79, v92, v85
	v_fma_f16 v92, v86, s7, v84
	v_fma_f16 v84, v86, s6, v84
	v_add_f16_e32 v86, v75, v77
	v_add_f16_e32 v86, v86, v56
	;; [unrolled: 1-line block ×3, first 2 shown]
	v_fma_f16 v56, v56, -0.5, v75
	v_sub_f16_e32 v75, v85, v116
	v_mul_f16_sdwa v63, v115, v64 dst_sel:DWORD dst_unused:UNUSED_PAD src0_sel:DWORD src1_sel:WORD_1
	v_fma_f16 v77, v75, s6, v56
	v_fma_f16 v63, v52, v64, -v63
	v_mul_f16_sdwa v52, v52, v64 dst_sel:DWORD dst_unused:UNUSED_PAD src0_sel:DWORD src1_sel:WORD_1
	v_fma_f16 v56, v75, s7, v56
	v_mul_f16_e32 v85, 0x3aee, v77
	v_mul_f16_e32 v107, -0.5, v84
	v_fma_f16 v52, v115, v64, v52
	s_waitcnt vmcnt(0)
	v_mul_f16_sdwa v64, v114, v109 dst_sel:DWORD dst_unused:UNUSED_PAD src0_sel:DWORD src1_sel:WORD_1
	v_fma_f16 v85, v92, 0.5, v85
	v_fma_f16 v107, v56, s7, v107
	v_mul_f16_e32 v56, -0.5, v56
	v_fma_f16 v64, v50, v109, -v64
	v_mul_f16_sdwa v50, v50, v109 dst_sel:DWORD dst_unused:UNUSED_PAD src0_sel:DWORD src1_sel:WORD_1
	v_add_f16_e32 v106, v101, v76
	v_sub_f16_e32 v76, v101, v76
	v_add_f16_e32 v101, v74, v85
	v_add_f16_e32 v112, v70, v86
	v_mul_f16_e32 v92, 0xbaee, v92
	v_fma_f16 v56, v84, s6, v56
	v_sub_f16_e32 v74, v74, v85
	v_sub_f16_e32 v85, v70, v86
	v_add_f16_e32 v70, v99, v100
	v_fma_f16 v50, v114, v109, v50
	v_add_f16_e32 v109, v37, v108
	v_sub_f16_e32 v37, v37, v108
	v_add_f16_e32 v108, v36, v107
	v_fma_f16 v77, v77, 0.5, v92
	v_add_f16_e32 v84, v78, v56
	v_sub_f16_e32 v36, v36, v107
	v_sub_f16_e32 v107, v78, v56
	v_add_f16_e32 v56, v35, v99
	v_fma_f16 v35, v70, -0.5, v35
	v_sub_f16_e32 v70, v89, v65
	v_add_f16_e32 v92, v81, v77
	v_sub_f16_e32 v86, v81, v77
	v_fma_f16 v77, v70, s7, v35
	v_fma_f16 v35, v70, s6, v35
	v_add_f16_e32 v70, v80, v89
	v_add_f16_e32 v70, v70, v65
	;; [unrolled: 1-line block ×3, first 2 shown]
	v_fma_f16 v65, v65, -0.5, v80
	v_add_f16_e32 v80, v97, v111
	v_add_f16_e32 v79, v79, v116
	v_sub_f16_e32 v78, v99, v100
	v_fma_f16 v80, v80, -0.5, v87
	v_sub_f16_e32 v81, v90, v55
	v_add_f16_e32 v75, v58, v79
	v_sub_f16_e32 v58, v58, v79
	v_fma_f16 v79, v78, s6, v65
	v_fma_f16 v65, v78, s7, v65
	v_add_f16_e32 v78, v87, v97
	v_fma_f16 v87, v81, s7, v80
	v_fma_f16 v80, v81, s6, v80
	v_add_f16_e32 v81, v88, v90
	v_add_f16_e32 v81, v81, v55
	v_add_f16_e32 v55, v90, v55
	v_fma_f16 v55, v55, -0.5, v88
	v_sub_f16_e32 v88, v97, v111
	v_fma_f16 v89, v88, s6, v55
	v_fma_f16 v55, v88, s7, v55
	v_mul_f16_e32 v99, -0.5, v80
	v_fma_f16 v99, v55, s7, v99
	v_mul_f16_e32 v55, -0.5, v55
	v_fma_f16 v55, v80, s6, v55
	v_add_f16_e32 v56, v56, v100
	v_mul_f16_e32 v90, 0x3aee, v89
	v_add_f16_e32 v100, v35, v99
	v_add_f16_e32 v113, v65, v55
	v_sub_f16_e32 v35, v35, v99
	v_sub_f16_e32 v99, v65, v55
	v_add_f16_e32 v65, v66, v68
	v_fma_f16 v90, v87, 0.5, v90
	v_add_f16_e32 v55, v34, v66
	v_fma_f16 v34, v65, -0.5, v34
	v_sub_f16_e32 v65, v45, v46
	v_add_f16_e32 v78, v78, v111
	v_add_f16_e32 v97, v77, v90
	;; [unrolled: 1-line block ×3, first 2 shown]
	v_sub_f16_e32 v77, v77, v90
	v_sub_f16_e32 v90, v70, v81
	v_fma_f16 v70, v65, s7, v34
	v_fma_f16 v34, v65, s6, v34
	v_add_f16_e32 v65, v93, v45
	v_add_f16_e32 v45, v45, v46
	;; [unrolled: 1-line block ×4, first 2 shown]
	v_fma_f16 v45, v45, -0.5, v93
	v_sub_f16_e32 v46, v66, v68
	v_add_f16_e32 v68, v67, v69
	v_fma_f16 v66, v46, s6, v45
	v_fma_f16 v45, v46, s7, v45
	v_add_f16_e32 v46, v73, v67
	v_fma_f16 v68, v68, -0.5, v73
	v_sub_f16_e32 v73, v49, v54
	v_add_f16_e32 v88, v56, v78
	v_mul_f16_e32 v87, 0xbaee, v87
	v_sub_f16_e32 v56, v56, v78
	v_fma_f16 v78, v73, s7, v68
	v_fma_f16 v68, v73, s6, v68
	v_add_f16_e32 v73, v48, v49
	v_add_f16_e32 v49, v49, v54
	v_fma_f16 v87, v89, 0.5, v87
	v_fma_f16 v48, v49, -0.5, v48
	v_sub_f16_e32 v49, v67, v69
	v_add_f16_e32 v89, v79, v87
	v_sub_f16_e32 v87, v79, v87
	v_add_f16_e32 v73, v73, v54
	v_fma_f16 v54, v49, s6, v48
	v_fma_f16 v48, v49, s7, v48
	v_mul_f16_e32 v79, -0.5, v68
	v_fma_f16 v79, v48, s7, v79
	v_mul_f16_e32 v48, -0.5, v48
	v_mul_f16_e32 v67, 0x3aee, v54
	v_fma_f16 v48, v68, s6, v48
	v_fma_f16 v67, v78, 0.5, v67
	v_mul_f16_e32 v78, 0xbaee, v78
	v_add_f16_e32 v115, v45, v48
	v_sub_f16_e32 v118, v45, v48
	v_add_f16_e32 v48, v61, v63
	v_fma_f16 v54, v54, 0.5, v78
	v_add_f16_e32 v45, v33, v61
	v_fma_f16 v33, v48, -0.5, v33
	v_sub_f16_e32 v48, v51, v52
	v_add_f16_e32 v114, v66, v54
	v_sub_f16_e32 v117, v66, v54
	v_fma_f16 v54, v48, s7, v33
	v_fma_f16 v33, v48, s6, v33
	v_add_f16_e32 v48, v104, v51
	v_add_f16_e32 v45, v45, v63
	;; [unrolled: 1-line block ×4, first 2 shown]
	v_sub_f16_e32 v52, v61, v63
	v_add_f16_e32 v63, v62, v64
	v_add_f16_e32 v93, v65, v73
	v_sub_f16_e32 v116, v65, v73
	v_fma_f16 v63, v63, -0.5, v91
	v_sub_f16_e32 v65, v38, v50
	v_fma_f16 v66, v65, s7, v63
	v_fma_f16 v63, v65, s6, v63
	v_add_f16_e32 v65, v47, v38
	v_add_f16_e32 v38, v38, v50
	;; [unrolled: 1-line block ×3, first 2 shown]
	v_fma_f16 v38, v38, -0.5, v47
	v_sub_f16_e32 v47, v62, v64
	v_add_f16_e32 v49, v55, v46
	v_add_f16_e32 v69, v70, v67
	v_sub_f16_e32 v46, v55, v46
	v_sub_f16_e32 v55, v70, v67
	v_add_f16_e32 v65, v65, v50
	v_fma_f16 v50, v47, s6, v38
	v_fma_f16 v38, v47, s7, v38
	v_mul_f16_e32 v67, -0.5, v63
	v_fma_f16 v51, v51, -0.5, v104
	v_fma_f16 v67, v38, s7, v67
	v_mul_f16_e32 v38, -0.5, v38
	v_fma_f16 v61, v52, s6, v51
	v_fma_f16 v51, v52, s7, v51
	;; [unrolled: 1-line block ×3, first 2 shown]
	v_add_f16_e32 v119, v51, v38
	v_sub_f16_e32 v122, v51, v38
	v_mov_b32_e32 v38, 0x2d0
	v_add_f16_e32 v52, v91, v62
	v_add_f16_e32 v91, v48, v65
	v_sub_f16_e32 v120, v48, v65
	v_cndmask_b32_e64 v38, 0, v38, s[0:1]
	v_lshlrev_b32_e32 v48, 1, v57
	v_add3_u32 v123, 0, v38, v48
	s_barrier
	ds_write_b16 v123, v71
	ds_write_b16 v123, v106 offset:120
	ds_write_b16 v123, v109 offset:240
	ds_write_b16 v123, v72 offset:360
	ds_write_b16 v123, v76 offset:480
	ds_write_b16 v123, v37 offset:600
	ds_write_b16 v29, v75
	ds_write_b16 v29, v101 offset:120
	ds_write_b16 v29, v108 offset:240
	ds_write_b16 v29, v58 offset:360
	ds_write_b16 v29, v74 offset:480
	ds_write_b16 v29, v36 offset:600
	;; [unrolled: 6-line block ×3, first 2 shown]
	v_lshlrev_b32_e32 v35, 1, v95
	v_add_f16_e32 v80, v34, v79
	v_sub_f16_e32 v34, v34, v79
	v_mul_f16_e32 v62, 0x3aee, v50
	v_add3_u32 v32, 0, v32, v35
	v_add_f16_e32 v52, v52, v64
	v_fma_f16 v62, v66, 0.5, v62
	v_mul_f16_e32 v66, 0xbaee, v66
	ds_write_b16 v32, v49
	ds_write_b16 v32, v69 offset:120
	ds_write_b16 v32, v80 offset:240
	;; [unrolled: 1-line block ×5, first 2 shown]
	v_mul_u32_u24_e32 v34, 0x2d0, v102
	v_lshlrev_b32_e32 v35, 1, v105
	v_add_f16_e32 v47, v45, v52
	v_add_f16_e32 v64, v54, v62
	;; [unrolled: 1-line block ×3, first 2 shown]
	v_fma_f16 v50, v50, 0.5, v66
	v_sub_f16_e32 v45, v45, v52
	v_sub_f16_e32 v52, v54, v62
	v_add3_u32 v34, 0, v34, v35
	v_lshl_add_u32 v49, v19, 1, 0
	v_add_f16_e32 v104, v61, v50
	v_sub_f16_e32 v33, v33, v67
	v_sub_f16_e32 v121, v61, v50
	ds_write_b16 v34, v47
	ds_write_b16 v34, v64 offset:120
	ds_write_b16 v34, v68 offset:240
	;; [unrolled: 1-line block ×5, first 2 shown]
	s_waitcnt lgkmcnt(0)
	s_barrier
	ds_read_u16 v37, v10
	ds_read_u16 v38, v41
	v_lshl_add_u32 v45, v21, 1, 0
	ds_read_u16 v66, v0
	ds_read_u16 v80, v0 offset:2880
	ds_read_u16 v78, v0 offset:3072
	;; [unrolled: 1-line block ×7, first 2 shown]
	v_lshl_add_u32 v46, v7, 1, 0
	v_lshl_add_u32 v47, v16, 1, 0
	;; [unrolled: 1-line block ×3, first 2 shown]
	ds_read_u16 v59, v43
	ds_read_u16 v58, v45
	;; [unrolled: 1-line block ×7, first 2 shown]
	v_lshl_add_u32 v50, v9, 1, 0
	v_lshl_add_u32 v51, v14, 1, 0
	ds_read_u16 v62, v49
	ds_read_u16 v61, v50
	;; [unrolled: 1-line block ×3, first 2 shown]
	v_lshl_add_u32 v52, v20, 1, 0
	ds_read_u16 v65, v15
	ds_read_u16 v63, v52
	ds_read_u16 v81, v0 offset:4224
	ds_read_u16 v79, v0 offset:4416
	;; [unrolled: 1-line block ×8, first 2 shown]
	s_waitcnt lgkmcnt(0)
	s_barrier
	ds_write_b16 v123, v110
	ds_write_b16 v123, v103 offset:120
	ds_write_b16 v123, v82 offset:240
	ds_write_b16 v123, v83 offset:360
	ds_write_b16 v123, v96 offset:480
	ds_write_b16 v123, v98 offset:600
	ds_write_b16 v29, v112
	ds_write_b16 v29, v92 offset:120
	ds_write_b16 v29, v84 offset:240
	ds_write_b16 v29, v85 offset:360
	ds_write_b16 v29, v86 offset:480
	ds_write_b16 v29, v107 offset:600
	;; [unrolled: 6-line block ×5, first 2 shown]
	v_lshlrev_b64 v[31:32], 2, v[1:2]
	v_lshlrev_b64 v[33:34], 2, v[17:18]
	v_add_co_u32_e64 v35, s[0:1], s12, v31
	v_addc_co_u32_e64 v36, s[0:1], v53, v32, s[0:1]
	v_lshlrev_b64 v[31:32], 2, v[11:12]
	s_waitcnt lgkmcnt(0)
	v_add_co_u32_e64 v31, s[0:1], s12, v31
	v_addc_co_u32_e64 v32, s[0:1], v53, v32, s[0:1]
	v_add_co_u32_e64 v33, s[0:1], s12, v33
	v_addc_co_u32_e64 v34, s[0:1], v53, v34, s[0:1]
	s_barrier
	global_load_dword v2, v[35:36], off offset:1400
	s_movk_i32 s0, 0x48
	v_add_u32_e32 v29, 0xffffffb8, v1
	v_cmp_gt_u32_e64 s[0:1], s0, v1
	v_cndmask_b32_e64 v29, v29, v23, s[0:1]
	global_load_dword v12, v[31:32], off offset:1400
	global_load_dword v18, v[33:34], off offset:1400
	v_lshlrev_b64 v[82:83], 2, v[29:30]
	v_lshlrev_b64 v[23:24], 2, v[23:24]
	v_add_co_u32_e64 v82, s[0:1], s12, v82
	v_addc_co_u32_e64 v83, s[0:1], v53, v83, s[0:1]
	global_load_dword v84, v[82:83], off offset:1400
	global_load_dword v85, v[35:36], off offset:1496
	s_movk_i32 s0, 0x2d83
	v_mul_u32_u24_sdwa v88, v7, s0 dst_sel:DWORD dst_unused:UNUSED_PAD src0_sel:WORD_0 src1_sel:DWORD
	v_lshrrev_b32_e32 v88, 22, v88
	ds_read_u16 v82, v15
	ds_read_u16 v83, v10
	global_load_dword v86, v[35:36], off offset:1880
	global_load_dword v87, v[35:36], off offset:2264
	v_mul_lo_u16_e32 v89, 0x168, v88
	v_mul_u32_u24_sdwa v91, v16, s0 dst_sel:DWORD dst_unused:UNUSED_PAD src0_sel:WORD_0 src1_sel:DWORD
	v_sub_u16_e32 v89, v7, v89
	v_lshrrev_b32_e32 v91, 22, v91
	v_lshlrev_b32_e32 v90, 2, v89
	v_mul_lo_u16_e32 v91, 0x168, v91
	v_mul_u32_u24_sdwa v93, v8, s0 dst_sel:DWORD dst_unused:UNUSED_PAD src0_sel:WORD_0 src1_sel:DWORD
	v_sub_u16_e32 v91, v16, v91
	v_lshrrev_b32_e32 v93, 22, v93
	global_load_dword v90, v90, s[12:13] offset:1400
	v_lshlrev_b32_e32 v92, 2, v91
	global_load_dword v92, v92, s[12:13] offset:1400
	v_mul_lo_u16_e32 v93, 0x168, v93
	v_mul_u32_u24_sdwa v95, v13, s0 dst_sel:DWORD dst_unused:UNUSED_PAD src0_sel:WORD_0 src1_sel:DWORD
	v_sub_u16_e32 v93, v8, v93
	v_lshrrev_b32_e32 v95, 22, v95
	v_lshlrev_b32_e32 v94, 2, v93
	global_load_dword v94, v94, s[12:13] offset:1400
	v_mul_lo_u16_e32 v95, 0x168, v95
	v_mul_u32_u24_sdwa v97, v19, s0 dst_sel:DWORD dst_unused:UNUSED_PAD src0_sel:WORD_0 src1_sel:DWORD
	v_sub_u16_e32 v95, v13, v95
	v_lshrrev_b32_e32 v97, 22, v97
	;; [unrolled: 6-line block ×5, first 2 shown]
	v_lshlrev_b32_e32 v104, 2, v103
	global_load_dword v104, v104, s[12:13] offset:1400
	v_mul_lo_u16_e32 v105, 0x168, v105
	v_sub_u16_e32 v105, v20, v105
	v_lshlrev_b32_e32 v106, 2, v105
	global_load_dword v106, v106, s[12:13] offset:1400
	ds_read_u16 v100, v41
	ds_read_u16 v107, v0
	ds_read_u16 v108, v0 offset:2880
	ds_read_u16 v109, v0 offset:3072
	;; [unrolled: 1-line block ×7, first 2 shown]
	s_movk_i32 s0, 0x47
	v_cmp_lt_u32_e64 s[0:1], s0, v1
	v_lshlrev_b64 v[21:22], 2, v[21:22]
	s_movk_i32 s7, 0x1000
	s_movk_i32 s6, 0xb40
	s_waitcnt vmcnt(14) lgkmcnt(6)
	v_mul_f16_sdwa v115, v108, v2 dst_sel:DWORD dst_unused:UNUSED_PAD src0_sel:DWORD src1_sel:WORD_1
	v_fma_f16 v115, v80, v2, -v115
	v_mul_f16_sdwa v80, v80, v2 dst_sel:DWORD dst_unused:UNUSED_PAD src0_sel:DWORD src1_sel:WORD_1
	v_fma_f16 v2, v108, v2, v80
	s_waitcnt vmcnt(13) lgkmcnt(5)
	v_mul_f16_sdwa v80, v109, v12 dst_sel:DWORD dst_unused:UNUSED_PAD src0_sel:DWORD src1_sel:WORD_1
	v_fma_f16 v80, v78, v12, -v80
	v_mul_f16_sdwa v78, v78, v12 dst_sel:DWORD dst_unused:UNUSED_PAD src0_sel:DWORD src1_sel:WORD_1
	v_fma_f16 v108, v109, v12, v78
	;; [unrolled: 5-line block ×7, first 2 shown]
	ds_read_u16 v70, v0 offset:4224
	ds_read_u16 v76, v0 offset:4416
	;; [unrolled: 1-line block ×8, first 2 shown]
	s_waitcnt vmcnt(7) lgkmcnt(7)
	v_mul_f16_sdwa v116, v70, v90 dst_sel:DWORD dst_unused:UNUSED_PAD src0_sel:DWORD src1_sel:WORD_1
	v_fma_f16 v116, v81, v90, -v116
	v_mul_f16_sdwa v81, v81, v90 dst_sel:DWORD dst_unused:UNUSED_PAD src0_sel:DWORD src1_sel:WORD_1
	v_fma_f16 v90, v70, v90, v81
	s_waitcnt vmcnt(6) lgkmcnt(6)
	v_mul_f16_sdwa v70, v76, v92 dst_sel:DWORD dst_unused:UNUSED_PAD src0_sel:DWORD src1_sel:WORD_1
	v_fma_f16 v70, v79, v92, -v70
	v_mul_f16_sdwa v79, v79, v92 dst_sel:DWORD dst_unused:UNUSED_PAD src0_sel:DWORD src1_sel:WORD_1
	v_fma_f16 v92, v76, v92, v79
	;; [unrolled: 5-line block ×4, first 2 shown]
	v_sub_f16_e32 v122, v107, v2
	v_sub_f16_e32 v2, v65, v80
	s_waitcnt vmcnt(3) lgkmcnt(3)
	v_mul_f16_sdwa v75, v111, v99 dst_sel:DWORD dst_unused:UNUSED_PAD src0_sel:DWORD src1_sel:WORD_1
	v_fma_f16 v75, v73, v99, -v75
	v_mul_f16_sdwa v73, v73, v99 dst_sel:DWORD dst_unused:UNUSED_PAD src0_sel:DWORD src1_sel:WORD_1
	v_fma_f16 v99, v111, v99, v73
	v_fma_f16 v65, v65, 2.0, -v2
	v_sub_f16_e32 v12, v37, v12
	s_waitcnt vmcnt(2) lgkmcnt(2)
	v_mul_f16_sdwa v73, v112, v102 dst_sel:DWORD dst_unused:UNUSED_PAD src0_sel:DWORD src1_sel:WORD_1
	v_fma_f16 v73, v69, v102, -v73
	v_mul_f16_sdwa v69, v69, v102 dst_sel:DWORD dst_unused:UNUSED_PAD src0_sel:DWORD src1_sel:WORD_1
	v_fma_f16 v102, v112, v102, v69
	ds_read_u16 v110, v43
	ds_read_u16 v111, v45
	ds_read_u16 v117, v46
	ds_read_u16 v118, v47
	ds_read_u16 v119, v48
	v_fma_f16 v37, v37, 2.0, -v12
	s_waitcnt vmcnt(1) lgkmcnt(6)
	v_mul_f16_sdwa v69, v113, v104 dst_sel:DWORD dst_unused:UNUSED_PAD src0_sel:DWORD src1_sel:WORD_1
	v_fma_f16 v69, v68, v104, -v69
	v_mul_f16_sdwa v68, v68, v104 dst_sel:DWORD dst_unused:UNUSED_PAD src0_sel:DWORD src1_sel:WORD_1
	v_fma_f16 v104, v113, v104, v68
	s_waitcnt vmcnt(0) lgkmcnt(5)
	v_mul_f16_sdwa v68, v114, v106 dst_sel:DWORD dst_unused:UNUSED_PAD src0_sel:DWORD src1_sel:WORD_1
	v_fma_f16 v68, v67, v106, -v68
	v_mul_f16_sdwa v67, v67, v106 dst_sel:DWORD dst_unused:UNUSED_PAD src0_sel:DWORD src1_sel:WORD_1
	v_fma_f16 v106, v114, v106, v67
	v_sub_f16_e32 v67, v66, v115
	v_fma_f16 v66, v66, 2.0, -v67
	ds_read_u16 v112, v42
	ds_read_u16 v113, v44
	;; [unrolled: 1-line block ×6, first 2 shown]
	s_waitcnt lgkmcnt(0)
	s_barrier
	ds_write_b16 v0, v66
	ds_write_b16 v0, v67 offset:720
	ds_write_b16 v15, v65
	ds_write_b16 v15, v2 offset:720
	;; [unrolled: 2-line block ×3, first 2 shown]
	v_mov_b32_e32 v2, 0x5a0
	v_sub_f16_e32 v18, v64, v18
	v_cndmask_b32_e64 v2, 0, v2, s[0:1]
	v_lshlrev_b32_e32 v12, 1, v29
	v_add_co_u32_e64 v23, s[0:1], s12, v23
	v_fma_f16 v64, v64, 2.0, -v18
	v_add3_u32 v29, 0, v2, v12
	v_addc_co_u32_e64 v24, s[0:1], v53, v24, s[0:1]
	v_sub_f16_e32 v66, v59, v74
	v_sub_f16_e32 v67, v38, v72
	ds_write_b16 v29, v64
	ds_write_b16 v29, v18 offset:720
	v_mul_u32_u24_e32 v12, 0x5a0, v88
	v_lshlrev_b32_e32 v18, 1, v89
	v_add_co_u32_e64 v25, s[0:1], s12, v25
	v_fma_f16 v59, v59, 2.0, -v66
	v_fma_f16 v38, v38, 2.0, -v67
	v_sub_f16_e32 v71, v58, v71
	v_sub_f16_e32 v72, v57, v116
	;; [unrolled: 1-line block ×9, first 2 shown]
	v_lshl_add_u32 v2, v1, 1, 0
	v_add3_u32 v37, 0, v12, v18
	v_lshl_add_u32 v88, v93, 1, 0
	v_mul_u32_u24_e32 v12, 0x5a0, v97
	v_lshlrev_b32_e32 v18, 1, v98
	v_lshl_add_u32 v93, v101, 1, 0
	v_sub_f16_e32 v98, v82, v108
	v_sub_f16_e32 v101, v83, v109
	v_addc_co_u32_e64 v26, s[0:1], v53, v26, s[0:1]
	v_fma_f16 v107, v107, 2.0, -v122
	v_fma_f16 v58, v58, 2.0, -v71
	;; [unrolled: 1-line block ×10, first 2 shown]
	ds_write_b16 v2, v59 offset:1488
	ds_write_b16 v2, v66 offset:2208
	;; [unrolled: 1-line block ×6, first 2 shown]
	v_lshl_add_u32 v38, v91, 1, 0
	v_lshl_add_u32 v89, v95, 1, 0
	v_add3_u32 v91, 0, v12, v18
	v_lshl_add_u32 v95, v103, 1, 0
	v_lshl_add_u32 v97, v105, 1, 0
	v_fma_f16 v82, v82, 2.0, -v98
	v_fma_f16 v83, v83, 2.0, -v101
	v_sub_f16_e32 v84, v112, v84
	v_sub_f16_e32 v85, v110, v85
	;; [unrolled: 1-line block ×12, first 2 shown]
	v_add_co_u32_e64 v27, s[0:1], s12, v27
	ds_write_b16 v37, v57
	ds_write_b16 v37, v72 offset:720
	ds_write_b16 v38, v55 offset:2880
	;; [unrolled: 1-line block ×7, first 2 shown]
	ds_write_b16 v91, v62
	ds_write_b16 v91, v75 offset:720
	ds_write_b16 v93, v61 offset:4320
	;; [unrolled: 1-line block ×7, first 2 shown]
	s_waitcnt lgkmcnt(0)
	s_barrier
	ds_read_u16 v61, v10
	ds_read_u16 v57, v41
	;; [unrolled: 1-line block ×3, first 2 shown]
	ds_read_u16 v81, v0 offset:2880
	ds_read_u16 v80, v0 offset:3072
	;; [unrolled: 1-line block ×7, first 2 shown]
	ds_read_u16 v63, v43
	ds_read_u16 v62, v45
	;; [unrolled: 1-line block ×12, first 2 shown]
	ds_read_u16 v78, v0 offset:4224
	ds_read_u16 v76, v0 offset:4416
	;; [unrolled: 1-line block ×8, first 2 shown]
	s_waitcnt lgkmcnt(0)
	s_barrier
	ds_write_b16 v0, v107
	ds_write_b16 v0, v122 offset:720
	v_fma_f16 v103, v112, 2.0, -v84
	v_fma_f16 v105, v110, 2.0, -v85
	;; [unrolled: 1-line block ×12, first 2 shown]
	ds_write_b16 v15, v82
	ds_write_b16 v15, v98 offset:720
	ds_write_b16 v10, v83
	ds_write_b16 v10, v101 offset:720
	;; [unrolled: 2-line block ×3, first 2 shown]
	ds_write_b16 v2, v105 offset:1488
	ds_write_b16 v2, v85 offset:2208
	ds_write_b16 v2, v100 offset:1680
	ds_write_b16 v2, v86 offset:2400
	ds_write_b16 v2, v107 offset:1872
	ds_write_b16 v2, v87 offset:2592
	ds_write_b16 v37, v108
	ds_write_b16 v37, v90 offset:720
	ds_write_b16 v38, v109 offset:2880
	;; [unrolled: 1-line block ×7, first 2 shown]
	ds_write_b16 v91, v112
	ds_write_b16 v91, v99 offset:720
	ds_write_b16 v93, v113 offset:4320
	;; [unrolled: 1-line block ×7, first 2 shown]
	s_waitcnt lgkmcnt(0)
	s_barrier
	global_load_dword v82, v[35:36], off offset:2840
	global_load_dword v83, v[31:32], off offset:2840
	v_addc_co_u32_e64 v28, s[0:1], v53, v28, s[0:1]
	global_load_dword v85, v[33:34], off offset:2840
	global_load_dword v84, v[23:24], off offset:2840
	;; [unrolled: 1-line block ×3, first 2 shown]
	v_add_co_u32_e64 v37, s[0:1], s12, v21
	v_addc_co_u32_e64 v38, s[0:1], v53, v22, s[0:1]
	v_subrev_u32_e32 v21, 48, v1
	v_cmp_gt_u32_e64 s[0:1], 48, v1
	global_load_dword v88, v[27:28], off offset:2840
	global_load_dword v87, v[37:38], off offset:2840
	v_cndmask_b32_e64 v29, v21, v7, s[0:1]
	v_lshlrev_b64 v[21:22], 2, v[29:30]
	v_lshlrev_b32_e32 v29, 1, v29
	v_add_co_u32_e64 v21, s[0:1], s12, v21
	v_addc_co_u32_e64 v22, s[0:1], v53, v22, s[0:1]
	global_load_dword v53, v[21:22], off offset:2840
	global_load_dword v89, v[35:36], off offset:3032
	;; [unrolled: 1-line block ×4, first 2 shown]
	v_add_co_u32_e64 v35, s[0:1], s7, v35
	v_addc_co_u32_e64 v36, s[0:1], 0, v36, s[0:1]
	global_load_dword v21, v[35:36], off offset:88
	global_load_dword v22, v[35:36], off offset:472
	ds_read_u16 v92, v15
	ds_read_u16 v93, v10
	;; [unrolled: 1-line block ×3, first 2 shown]
	global_load_dword v95, v[35:36], off offset:856
	global_load_dword v96, v[35:36], off offset:1240
	ds_read_u16 v97, v0
	ds_read_u16 v98, v0 offset:2880
	ds_read_u16 v99, v0 offset:3072
	;; [unrolled: 1-line block ×7, first 2 shown]
	ds_read_u16 v105, v43
	ds_read_u16 v106, v45
	;; [unrolled: 1-line block ×7, first 2 shown]
	v_cmp_lt_u32_e64 s[0:1], 47, v1
	s_waitcnt vmcnt(14) lgkmcnt(13)
	v_mul_f16_sdwa v112, v98, v82 dst_sel:DWORD dst_unused:UNUSED_PAD src0_sel:DWORD src1_sel:WORD_1
	v_fma_f16 v112, v81, v82, -v112
	v_mul_f16_sdwa v81, v81, v82 dst_sel:DWORD dst_unused:UNUSED_PAD src0_sel:DWORD src1_sel:WORD_1
	v_fma_f16 v81, v98, v82, v81
	s_waitcnt vmcnt(13) lgkmcnt(12)
	v_mul_f16_sdwa v82, v99, v83 dst_sel:DWORD dst_unused:UNUSED_PAD src0_sel:DWORD src1_sel:WORD_1
	s_waitcnt vmcnt(10) lgkmcnt(9)
	v_mul_f16_sdwa v116, v102, v86 dst_sel:DWORD dst_unused:UNUSED_PAD src0_sel:DWORD src1_sel:WORD_1
	v_fma_f16 v82, v80, v83, -v82
	v_mul_f16_sdwa v80, v80, v83 dst_sel:DWORD dst_unused:UNUSED_PAD src0_sel:DWORD src1_sel:WORD_1
	v_fma_f16 v116, v74, v86, -v116
	v_mul_f16_sdwa v74, v74, v86 dst_sel:DWORD dst_unused:UNUSED_PAD src0_sel:DWORD src1_sel:WORD_1
	v_fma_f16 v80, v99, v83, v80
	v_mul_f16_sdwa v83, v100, v85 dst_sel:DWORD dst_unused:UNUSED_PAD src0_sel:DWORD src1_sel:WORD_1
	v_fma_f16 v74, v102, v86, v74
	s_waitcnt vmcnt(9) lgkmcnt(8)
	v_mul_f16_sdwa v86, v103, v88 dst_sel:DWORD dst_unused:UNUSED_PAD src0_sel:DWORD src1_sel:WORD_1
	v_fma_f16 v83, v79, v85, -v83
	v_mul_f16_sdwa v79, v79, v85 dst_sel:DWORD dst_unused:UNUSED_PAD src0_sel:DWORD src1_sel:WORD_1
	v_fma_f16 v86, v72, v88, -v86
	v_mul_f16_sdwa v72, v72, v88 dst_sel:DWORD dst_unused:UNUSED_PAD src0_sel:DWORD src1_sel:WORD_1
	v_fma_f16 v79, v100, v85, v79
	v_mul_f16_sdwa v85, v101, v84 dst_sel:DWORD dst_unused:UNUSED_PAD src0_sel:DWORD src1_sel:WORD_1
	v_fma_f16 v72, v103, v88, v72
	s_waitcnt vmcnt(8) lgkmcnt(7)
	v_mul_f16_sdwa v88, v104, v87 dst_sel:DWORD dst_unused:UNUSED_PAD src0_sel:DWORD src1_sel:WORD_1
	v_fma_f16 v85, v77, v84, -v85
	v_mul_f16_sdwa v77, v77, v84 dst_sel:DWORD dst_unused:UNUSED_PAD src0_sel:DWORD src1_sel:WORD_1
	v_fma_f16 v88, v70, v87, -v88
	v_mul_f16_sdwa v70, v70, v87 dst_sel:DWORD dst_unused:UNUSED_PAD src0_sel:DWORD src1_sel:WORD_1
	v_fma_f16 v77, v101, v84, v77
	ds_read_u16 v84, v0 offset:4224
	ds_read_u16 v98, v0 offset:4416
	;; [unrolled: 1-line block ×8, first 2 shown]
	v_fma_f16 v70, v104, v87, v70
	s_waitcnt vmcnt(6) lgkmcnt(6)
	v_mul_f16_sdwa v104, v98, v89 dst_sel:DWORD dst_unused:UNUSED_PAD src0_sel:DWORD src1_sel:WORD_1
	v_fma_f16 v104, v76, v89, -v104
	v_mul_f16_sdwa v76, v76, v89 dst_sel:DWORD dst_unused:UNUSED_PAD src0_sel:DWORD src1_sel:WORD_1
	v_fma_f16 v76, v98, v89, v76
	s_waitcnt vmcnt(5) lgkmcnt(5)
	v_mul_f16_sdwa v89, v99, v90 dst_sel:DWORD dst_unused:UNUSED_PAD src0_sel:DWORD src1_sel:WORD_1
	v_fma_f16 v89, v75, v90, -v89
	v_mul_f16_sdwa v75, v75, v90 dst_sel:DWORD dst_unused:UNUSED_PAD src0_sel:DWORD src1_sel:WORD_1
	;; [unrolled: 5-line block ×5, first 2 shown]
	v_fma_f16 v22, v113, v22, v69
	s_waitcnt vmcnt(1) lgkmcnt(1)
	v_mul_f16_sdwa v69, v114, v95 dst_sel:DWORD dst_unused:UNUSED_PAD src0_sel:DWORD src1_sel:WORD_1
	v_mul_f16_sdwa v87, v84, v53 dst_sel:DWORD dst_unused:UNUSED_PAD src0_sel:DWORD src1_sel:WORD_1
	v_fma_f16 v69, v68, v95, -v69
	v_mul_f16_sdwa v68, v68, v95 dst_sel:DWORD dst_unused:UNUSED_PAD src0_sel:DWORD src1_sel:WORD_1
	v_fma_f16 v87, v78, v53, -v87
	v_mul_f16_sdwa v78, v78, v53 dst_sel:DWORD dst_unused:UNUSED_PAD src0_sel:DWORD src1_sel:WORD_1
	v_fma_f16 v68, v114, v95, v68
	s_waitcnt vmcnt(0) lgkmcnt(0)
	v_mul_f16_sdwa v95, v115, v96 dst_sel:DWORD dst_unused:UNUSED_PAD src0_sel:DWORD src1_sel:WORD_1
	v_fma_f16 v53, v84, v53, v78
	ds_read_u16 v78, v49
	ds_read_u16 v84, v50
	;; [unrolled: 1-line block ×4, first 2 shown]
	v_fma_f16 v95, v67, v96, -v95
	v_mul_f16_sdwa v67, v67, v96 dst_sel:DWORD dst_unused:UNUSED_PAD src0_sel:DWORD src1_sel:WORD_1
	v_fma_f16 v67, v115, v96, v67
	v_sub_f16_e32 v96, v64, v112
	v_sub_f16_e32 v100, v105, v74
	;; [unrolled: 1-line block ×3, first 2 shown]
	v_fma_f16 v64, v64, 2.0, -v96
	v_sub_f16_e32 v82, v66, v82
	v_sub_f16_e32 v83, v61, v83
	;; [unrolled: 1-line block ×6, first 2 shown]
	v_fma_f16 v57, v57, 2.0, -v74
	v_sub_f16_e32 v72, v62, v88
	v_sub_f16_e32 v88, v106, v70
	v_sub_f16_e32 v70, v60, v87
	v_fma_f16 v66, v66, 2.0, -v82
	v_fma_f16 v61, v61, 2.0, -v83
	;; [unrolled: 1-line block ×5, first 2 shown]
	v_sub_f16_e32 v87, v107, v53
	v_fma_f16 v53, v60, 2.0, -v70
	v_sub_f16_e32 v60, v59, v104
	v_sub_f16_e32 v104, v108, v76
	;; [unrolled: 1-line block ×7, first 2 shown]
	s_waitcnt lgkmcnt(0)
	s_barrier
	ds_write_b16 v0, v64
	ds_write_b16 v0, v96 offset:1440
	ds_write_b16 v15, v66
	ds_write_b16 v15, v82 offset:1440
	;; [unrolled: 2-line block ×7, first 2 shown]
	v_mov_b32_e32 v57, 0xb40
	v_fma_f16 v99, v110, 2.0, -v98
	v_fma_f16 v101, v105, 2.0, -v100
	;; [unrolled: 1-line block ×7, first 2 shown]
	v_sub_f16_e32 v73, v55, v91
	v_sub_f16_e32 v110, v84, v22
	v_fma_f16 v22, v54, 2.0, -v71
	v_sub_f16_e32 v54, v18, v69
	v_sub_f16_e32 v111, v102, v68
	;; [unrolled: 1-line block ×3, first 2 shown]
	v_cndmask_b32_e64 v57, 0, v57, s[0:1]
	v_fma_f16 v59, v59, 2.0, -v60
	v_fma_f16 v58, v58, 2.0, -v76
	;; [unrolled: 1-line block ×3, first 2 shown]
	v_sub_f16_e32 v21, v78, v21
	v_fma_f16 v55, v55, 2.0, -v73
	v_fma_f16 v18, v18, 2.0, -v54
	;; [unrolled: 1-line block ×3, first 2 shown]
	v_add3_u32 v82, 0, v57, v29
	v_fma_f16 v91, v78, 2.0, -v21
	v_sub_f16_e32 v95, v103, v67
	ds_write_b16 v82, v53
	ds_write_b16 v82, v70 offset:1440
	ds_write_b16 v2, v59 offset:2976
	;; [unrolled: 1-line block ×15, first 2 shown]
	s_waitcnt lgkmcnt(0)
	s_barrier
	ds_read_u16 v53, v10
	ds_read_u16 v58, v41
	;; [unrolled: 1-line block ×3, first 2 shown]
	ds_read_u16 v18, v0 offset:2880
	ds_read_u16 v29, v0 offset:3072
	;; [unrolled: 1-line block ×7, first 2 shown]
	ds_read_u16 v59, v43
	ds_read_u16 v63, v45
	;; [unrolled: 1-line block ×12, first 2 shown]
	ds_read_u16 v66, v0 offset:4224
	ds_read_u16 v68, v0 offset:4416
	;; [unrolled: 1-line block ×8, first 2 shown]
	v_sub_f16_e32 v81, v97, v81
	v_fma_f16 v97, v97, 2.0, -v81
	v_sub_f16_e32 v80, v92, v80
	v_sub_f16_e32 v79, v93, v79
	v_fma_f16 v92, v92, 2.0, -v80
	v_fma_f16 v93, v93, 2.0, -v79
	;; [unrolled: 1-line block ×6, first 2 shown]
	s_waitcnt lgkmcnt(0)
	s_barrier
	ds_write_b16 v0, v97
	ds_write_b16 v0, v81 offset:1440
	ds_write_b16 v15, v92
	ds_write_b16 v15, v80 offset:1440
	;; [unrolled: 2-line block ×8, first 2 shown]
	ds_write_b16 v2, v107 offset:2976
	ds_write_b16 v2, v104 offset:4416
	;; [unrolled: 1-line block ×14, first 2 shown]
	s_waitcnt lgkmcnt(0)
	s_barrier
	s_and_saveexec_b64 s[0:1], vcc
	s_cbranch_execz .LBB0_15
; %bb.14:
	v_mov_b32_e32 v21, v30
	v_lshlrev_b64 v[20:21], 2, v[20:21]
	v_mov_b32_e32 v81, s13
	v_add_co_u32_e32 v2, vcc, s12, v20
	v_addc_co_u32_e32 v10, vcc, v81, v21, vcc
	v_mov_b32_e32 v15, v30
	v_add_co_u32_e32 v20, vcc, s7, v2
	v_lshlrev_b64 v[14:15], 2, v[14:15]
	v_addc_co_u32_e32 v21, vcc, 0, v10, vcc
	v_add_co_u32_e32 v2, vcc, s12, v14
	v_addc_co_u32_e32 v10, vcc, v81, v15, vcc
	v_add_co_u32_e32 v14, vcc, s7, v2
	v_addc_co_u32_e32 v15, vcc, 0, v10, vcc
	v_mov_b32_e32 v10, v30
	v_lshlrev_b64 v[9:10], 2, v[9:10]
	global_load_dword v21, v[20:21], off offset:1624
	v_add_co_u32_e32 v2, vcc, s12, v9
	global_load_dword v15, v[14:15], off offset:1624
	v_addc_co_u32_e32 v10, vcc, v81, v10, vcc
	v_add_co_u32_e32 v9, vcc, s7, v2
	v_addc_co_u32_e32 v10, vcc, 0, v10, vcc
	global_load_dword v82, v[9:10], off offset:1624
	v_mul_lo_u32 v2, s5, v5
	v_mul_lo_u32 v6, s4, v6
	v_mad_u64_u32 v[79:80], s[0:1], s4, v5, 0
	v_mov_b32_e32 v20, v30
	v_mov_b32_e32 v14, v30
	v_add3_u32 v80, v80, v6, v2
	v_lshlrev_b64 v[5:6], 2, v[19:20]
	v_mul_i32_i24_e32 v84, 0xffffffee, v17
	v_add_co_u32_e32 v2, vcc, s12, v5
	v_addc_co_u32_e32 v6, vcc, v81, v6, vcc
	v_add_co_u32_e32 v5, vcc, s7, v2
	v_addc_co_u32_e32 v6, vcc, 0, v6, vcc
	global_load_dword v85, v[5:6], off offset:1624
	v_lshlrev_b64 v[5:6], 2, v[13:14]
	v_mov_b32_e32 v9, v30
	v_add_co_u32_e32 v2, vcc, s12, v5
	v_addc_co_u32_e32 v6, vcc, v81, v6, vcc
	v_add_co_u32_e32 v5, vcc, s7, v2
	v_addc_co_u32_e32 v6, vcc, 0, v6, vcc
	global_load_dword v86, v[5:6], off offset:1624
	v_lshlrev_b64 v[5:6], 2, v[8:9]
	v_mov_b32_e32 v17, v30
	v_add_co_u32_e32 v2, vcc, s12, v5
	v_addc_co_u32_e32 v6, vcc, v81, v6, vcc
	v_add_co_u32_e32 v5, vcc, s7, v2
	v_lshlrev_b64 v[8:9], 2, v[16:17]
	v_addc_co_u32_e32 v6, vcc, 0, v6, vcc
	v_add_co_u32_e32 v2, vcc, s12, v8
	v_addc_co_u32_e32 v9, vcc, v81, v9, vcc
	ds_read_u16 v10, v0 offset:5568
	v_add_co_u32_e32 v8, vcc, s7, v2
	v_addc_co_u32_e32 v9, vcc, 0, v9, vcc
	global_load_dword v87, v[5:6], off offset:1624
	global_load_dword v88, v[8:9], off offset:1624
	;; [unrolled: 1-line block ×3, first 2 shown]
	ds_read_u16 v8, v0 offset:5376
	ds_read_u16 v35, v49
	ds_read_u16 v13, v51
	;; [unrolled: 1-line block ×3, first 2 shown]
	ds_read_u16 v17, v0 offset:5184
	v_mul_i32_i24_e32 v83, 0xffffffee, v11
	ds_read_u16 v36, v0 offset:4800
	ds_read_u16 v9, v52
	v_add_u32_e32 v40, v40, v84
	v_add_u32_e32 v39, v39, v83
	s_mov_b32 s0, 0x5b05b06
	v_lshlrev_b64 v[3:4], 2, v[3:4]
	s_waitcnt vmcnt(7)
	v_lshrrev_b32_e32 v5, 16, v21
	s_waitcnt lgkmcnt(7)
	v_mul_f16_e32 v2, v5, v10
	v_mul_f16_e32 v10, v21, v10
	s_waitcnt vmcnt(6)
	v_lshrrev_b32_e32 v11, 16, v15
	v_fma_f16 v5, v78, v5, v10
	s_waitcnt lgkmcnt(6)
	v_mul_f16_e32 v10, v11, v8
	v_mul_f16_e32 v8, v15, v8
	v_fma_f16 v8, v76, v11, v8
	v_fma_f16 v2, v78, v21, -v2
	v_fma_f16 v10, v76, v15, -v10
	s_waitcnt lgkmcnt(4)
	v_sub_f16_e32 v11, v13, v8
	s_waitcnt vmcnt(5)
	v_lshrrev_b32_e32 v8, 16, v82
	ds_read_u16 v21, v0 offset:4992
	s_waitcnt lgkmcnt(3)
	v_mul_f16_e32 v15, v82, v17
	v_mul_f16_e32 v14, v8, v17
	v_fma_f16 v8, v75, v8, v15
	v_sub_f16_e32 v15, v19, v8
	v_mov_b32_e32 v8, v30
	v_lshlrev_b64 v[7:8], 2, v[7:8]
	v_fma_f16 v14, v75, v82, -v14
	v_add_co_u32_e32 v7, vcc, s12, v7
	v_addc_co_u32_e32 v8, vcc, v81, v8, vcc
	v_add_co_u32_e32 v7, vcc, s7, v7
	v_addc_co_u32_e32 v8, vcc, 0, v8, vcc
	global_load_dword v30, v[7:8], off offset:1624
	v_fma_f16 v7, v19, 2.0, -v15
	v_add_co_u32_e32 v19, vcc, s7, v37
	v_addc_co_u32_e32 v20, vcc, 0, v38, vcc
	s_waitcnt vmcnt(5)
	v_lshrrev_b32_e32 v17, 16, v85
	global_load_dword v37, v[19:20], off offset:1624
	s_waitcnt lgkmcnt(0)
	v_mul_f16_e32 v20, v85, v21
	v_mul_f16_e32 v8, v17, v21
	v_fma_f16 v17, v73, v17, v20
	v_add_co_u32_e32 v20, vcc, s7, v27
	v_addc_co_u32_e32 v21, vcc, 0, v28, vcc
	global_load_dword v28, v[20:21], off offset:1624
	v_add_co_u32_e32 v25, vcc, s7, v25
	v_addc_co_u32_e32 v26, vcc, 0, v26, vcc
	global_load_dword v38, v[25:26], off offset:1624
	v_sub_f16_e32 v17, v35, v17
	s_waitcnt vmcnt(7)
	v_lshrrev_b32_e32 v27, 16, v86
	ds_read_u16 v26, v44
	v_add_co_u32_e32 v23, vcc, s7, v23
	v_fma_f16 v20, v35, 2.0, -v17
	ds_read_u16 v35, v0 offset:4608
	v_mul_f16_e32 v21, v27, v36
	v_mul_f16_e32 v36, v86, v36
	v_addc_co_u32_e32 v24, vcc, 0, v24, vcc
	v_fma_f16 v27, v71, v27, v36
	global_load_dword v36, v[23:24], off offset:1624
	v_add_co_u32_e32 v23, vcc, s7, v33
	v_addc_co_u32_e32 v24, vcc, 0, v34, vcc
	global_load_dword v33, v[23:24], off offset:1624
	s_waitcnt lgkmcnt(1)
	v_sub_f16_e32 v23, v26, v27
	v_fma_f16 v24, v26, 2.0, -v23
	v_add_co_u32_e32 v26, vcc, s7, v31
	v_addc_co_u32_e32 v27, vcc, 0, v32, vcc
	ds_read_u16 v34, v48
	ds_read_u16 v44, v47
	;; [unrolled: 1-line block ×7, first 2 shown]
	global_load_dword v31, v[26:27], off offset:1624
	ds_read_u16 v48, v0 offset:4416
	ds_read_u16 v39, v39
	s_waitcnt vmcnt(9)
	v_lshrrev_b32_e32 v47, 16, v87
	s_waitcnt lgkmcnt(9)
	v_mul_f16_e32 v49, v47, v35
	v_mul_f16_e32 v27, v87, v35
	ds_read_u16 v35, v0 offset:4224
	ds_read_u16 v40, v40
	s_waitcnt vmcnt(8)
	v_lshrrev_b32_e32 v32, 16, v88
	v_fma_f16 v27, v69, v47, v27
	s_waitcnt lgkmcnt(3)
	v_mul_f16_e32 v47, v32, v48
	v_mul_f16_e32 v48, v88, v48
	v_fma_f16 v32, v68, v32, v48
	v_sub_f16_e32 v48, v44, v32
	v_fma_f16 v47, v68, v88, -v47
	v_sub_f16_e32 v47, v65, v47
	v_fma_f16 v50, v65, 2.0, -v47
	v_fma_f16 v26, v69, v87, -v49
	v_sub_f16_e32 v26, v67, v26
	v_fma_f16 v49, v67, 2.0, -v26
	v_sub_f16_e32 v5, v9, v5
	v_fma_f16 v44, v44, 2.0, -v48
	;; [unrolled: 2-line block ×3, first 2 shown]
	v_fma_f16 v21, v71, v86, -v21
	v_sub_f16_e32 v21, v70, v21
	v_fma_f16 v25, v70, 2.0, -v21
	v_fma_f16 v8, v73, v85, -v8
	v_sub_f16_e32 v8, v72, v8
	v_fma_f16 v19, v72, 2.0, -v8
	v_sub_f16_e32 v14, v74, v14
	v_fma_f16 v16, v74, 2.0, -v14
	v_pack_b32_f16 v16, v16, v7
	v_sub_f16_e32 v10, v12, v10
	s_waitcnt vmcnt(6)
	v_lshrrev_b32_e32 v32, 16, v30
	s_waitcnt lgkmcnt(1)
	v_mul_f16_e32 v51, v32, v35
	v_fma_f16 v51, v66, v30, -v51
	v_mul_f16_e32 v30, v30, v35
	v_fma_f16 v30, v66, v32, v30
	ds_read_u16 v32, v0 offset:4032
	v_sub_f16_e32 v51, v64, v51
	v_fma_f16 v52, v64, 2.0, -v51
	ds_read_u16 v64, v0 offset:3840
	v_sub_f16_e32 v35, v46, v30
	s_waitcnt vmcnt(5)
	v_lshrrev_b32_e32 v30, 16, v37
	s_waitcnt lgkmcnt(1)
	v_mul_f16_e32 v65, v30, v32
	v_mul_f16_e32 v32, v37, v32
	v_fma_f16 v30, v62, v30, v32
	ds_read_u16 v32, v0 offset:3648
	v_fma_f16 v65, v62, v37, -v65
	v_sub_f16_e32 v37, v45, v30
	s_waitcnt vmcnt(4)
	v_lshrrev_b32_e32 v30, 16, v28
	s_waitcnt lgkmcnt(1)
	v_mul_f16_e32 v62, v30, v64
	v_fma_f16 v62, v61, v28, -v62
	v_mul_f16_e32 v28, v28, v64
	v_fma_f16 v28, v61, v30, v28
	ds_read_u16 v30, v0 offset:3456
	v_sub_f16_e32 v61, v41, v28
	s_waitcnt vmcnt(3)
	v_lshrrev_b32_e32 v28, 16, v38
	s_waitcnt lgkmcnt(1)
	v_mul_f16_e32 v64, v28, v32
	v_mul_f16_e32 v32, v38, v32
	v_fma_f16 v28, v56, v28, v32
	ds_read_u16 v32, v0 offset:3264
	v_fma_f16 v64, v56, v38, -v64
	v_sub_f16_e32 v38, v43, v28
	v_sub_f16_e32 v64, v59, v64
	v_fma_f16 v59, v59, 2.0, -v64
	s_waitcnt vmcnt(2)
	v_lshrrev_b32_e32 v28, 16, v36
	s_waitcnt lgkmcnt(1)
	v_mul_f16_e32 v56, v28, v30
	v_mul_f16_e32 v30, v36, v30
	v_fma_f16 v28, v55, v28, v30
	ds_read_u16 v30, v0 offset:3072
	v_fma_f16 v56, v55, v36, -v56
	v_sub_f16_e32 v36, v42, v28
	s_waitcnt vmcnt(1)
	v_lshrrev_b32_e32 v28, 16, v33
	s_waitcnt lgkmcnt(1)
	v_mul_f16_e32 v55, v28, v32
	v_mul_f16_e32 v32, v33, v32
	v_fma_f16 v28, v54, v28, v32
	ds_read_u16 v32, v0 offset:2880
	v_fma_f16 v55, v54, v33, -v55
	v_sub_f16_e32 v54, v40, v28
	s_waitcnt vmcnt(0)
	v_lshrrev_b32_e32 v28, 16, v31
	s_waitcnt lgkmcnt(1)
	v_mul_f16_e32 v33, v28, v30
	v_mul_f16_e32 v30, v31, v30
	v_fma_f16 v28, v29, v28, v30
	v_sub_f16_e32 v67, v39, v28
	v_lshrrev_b32_e32 v28, 5, v1
	v_mul_hi_u32 v28, v28, s0
	v_fma_f16 v33, v29, v31, -v33
	v_lshrrev_b32_e32 v31, 16, v89
	v_sub_f16_e32 v66, v57, v33
	ds_read_u16 v33, v0
	v_mul_u32_u24_e32 v28, 0x5a0, v28
	v_sub_u32_e32 v68, v1, v28
	v_mad_u64_u32 v[28:29], s[4:5], s2, v68, 0
	s_waitcnt lgkmcnt(1)
	v_mul_f16_e32 v0, v31, v32
	v_fma_f16 v0, v18, v89, -v0
	v_sub_f16_e32 v69, v22, v0
	v_mov_b32_e32 v0, v29
	v_mul_f16_e32 v32, v89, v32
	v_mad_u64_u32 v[29:30], s[4:5], s3, v68, v[0:1]
	v_fma_f16 v0, v18, v31, v32
	v_lshlrev_b64 v[30:31], 2, v[79:80]
	s_waitcnt lgkmcnt(0)
	v_sub_f16_e32 v18, v33, v0
	v_mov_b32_e32 v0, s11
	v_add_co_u32_e32 v30, vcc, s10, v30
	v_fma_f16 v22, v22, 2.0, -v69
	v_fma_f16 v32, v33, 2.0, -v18
	v_addc_co_u32_e32 v31, vcc, v0, v31, vcc
	v_add_co_u32_e32 v0, vcc, v30, v3
	v_pack_b32_f16 v22, v22, v32
	v_add_u32_e32 v32, 0x5a0, v68
	v_add_u32_e32 v33, 0x60, v1
	v_addc_co_u32_e32 v3, vcc, v31, v4, vcc
	v_mad_u64_u32 v[30:31], s[4:5], s2, v32, 0
	v_lshrrev_b32_e32 v4, 5, v33
	v_mul_hi_u32 v68, v4, s0
	v_mov_b32_e32 v4, v31
	v_mad_u64_u32 v[31:32], s[4:5], s3, v32, v[4:5]
	v_mul_u32_u24_e32 v4, 0x5a0, v68
	v_sub_u32_e32 v4, v33, v4
	v_mad_u32_u24 v68, v68, s6, v4
	v_mad_u64_u32 v[32:33], s[4:5], s2, v68, 0
	v_lshlrev_b64 v[28:29], 2, v[28:29]
	v_fma_f16 v57, v57, 2.0, -v66
	v_add_co_u32_e32 v28, vcc, v0, v28
	v_addc_co_u32_e32 v29, vcc, v3, v29, vcc
	v_mov_b32_e32 v4, v33
	global_store_dword v[28:29], v22, off
	v_lshlrev_b64 v[28:29], 2, v[30:31]
	v_mad_u64_u32 v[30:31], s[4:5], s3, v68, v[4:5]
	v_add_co_u32_e32 v28, vcc, v0, v28
	v_addc_co_u32_e32 v29, vcc, v3, v29, vcc
	v_pack_b32_f16 v4, v69, v18
	v_mov_b32_e32 v33, v30
	global_store_dword v[28:29], v4, off
	v_lshlrev_b64 v[28:29], 2, v[32:33]
	v_add_u32_e32 v22, 0x5a0, v68
	v_add_u32_e32 v33, 0xc0, v1
	v_fma_f16 v39, v39, 2.0, -v67
	v_mad_u64_u32 v[30:31], s[4:5], s2, v22, 0
	v_lshrrev_b32_e32 v4, 5, v33
	v_pack_b32_f16 v18, v57, v39
	v_mul_hi_u32 v39, v4, s0
	v_mov_b32_e32 v4, v31
	v_mad_u64_u32 v[31:32], s[4:5], s3, v22, v[4:5]
	v_mul_u32_u24_e32 v4, 0x5a0, v39
	v_sub_u32_e32 v4, v33, v4
	v_mad_u32_u24 v22, v39, s6, v4
	v_mad_u64_u32 v[32:33], s[4:5], s2, v22, 0
	v_add_co_u32_e32 v28, vcc, v0, v28
	v_addc_co_u32_e32 v29, vcc, v3, v29, vcc
	v_mov_b32_e32 v4, v33
	global_store_dword v[28:29], v18, off
	v_lshlrev_b64 v[28:29], 2, v[30:31]
	v_mad_u64_u32 v[30:31], s[4:5], s3, v22, v[4:5]
	v_add_co_u32_e32 v28, vcc, v0, v28
	v_addc_co_u32_e32 v29, vcc, v3, v29, vcc
	v_pack_b32_f16 v4, v66, v67
	v_mov_b32_e32 v33, v30
	global_store_dword v[28:29], v4, off
	v_lshlrev_b64 v[28:29], 2, v[32:33]
	v_add_u32_e32 v22, 0x5a0, v22
	v_add_u32_e32 v33, 0x120, v1
	v_mad_u64_u32 v[30:31], s[4:5], s2, v22, 0
	v_lshrrev_b32_e32 v4, 5, v33
	v_mul_hi_u32 v39, v4, s0
	v_mov_b32_e32 v4, v31
	v_mad_u64_u32 v[31:32], s[4:5], s3, v22, v[4:5]
	v_mul_u32_u24_e32 v4, 0x5a0, v39
	v_sub_u32_e32 v4, v33, v4
	v_mad_u32_u24 v22, v39, s6, v4
	v_mad_u64_u32 v[32:33], s[4:5], s2, v22, 0
	v_sub_f16_e32 v55, v53, v55
	v_fma_f16 v53, v53, 2.0, -v55
	v_fma_f16 v40, v40, 2.0, -v54
	v_add_co_u32_e32 v28, vcc, v0, v28
	v_addc_co_u32_e32 v29, vcc, v3, v29, vcc
	v_pack_b32_f16 v18, v53, v40
	v_mov_b32_e32 v4, v33
	global_store_dword v[28:29], v18, off
	v_lshlrev_b64 v[28:29], 2, v[30:31]
	v_mad_u64_u32 v[30:31], s[4:5], s3, v22, v[4:5]
	v_add_co_u32_e32 v28, vcc, v0, v28
	v_addc_co_u32_e32 v29, vcc, v3, v29, vcc
	v_pack_b32_f16 v4, v55, v54
	v_mov_b32_e32 v33, v30
	global_store_dword v[28:29], v4, off
	v_lshlrev_b64 v[28:29], 2, v[32:33]
	v_add_u32_e32 v22, 0x5a0, v22
	v_add_u32_e32 v33, 0x180, v1
	v_mad_u64_u32 v[30:31], s[4:5], s2, v22, 0
	v_lshrrev_b32_e32 v4, 5, v33
	v_mul_hi_u32 v39, v4, s0
	v_mov_b32_e32 v4, v31
	v_mad_u64_u32 v[31:32], s[4:5], s3, v22, v[4:5]
	v_mul_u32_u24_e32 v4, 0x5a0, v39
	v_sub_u32_e32 v4, v33, v4
	v_mad_u32_u24 v22, v39, s6, v4
	v_mad_u64_u32 v[32:33], s[4:5], s2, v22, 0
	v_sub_f16_e32 v56, v60, v56
	v_fma_f16 v60, v60, 2.0, -v56
	v_fma_f16 v42, v42, 2.0, -v36
	v_add_co_u32_e32 v28, vcc, v0, v28
	v_addc_co_u32_e32 v29, vcc, v3, v29, vcc
	v_pack_b32_f16 v18, v60, v42
	v_mov_b32_e32 v4, v33
	global_store_dword v[28:29], v18, off
	v_lshlrev_b64 v[28:29], 2, v[30:31]
	v_mad_u64_u32 v[30:31], s[4:5], s3, v22, v[4:5]
	v_add_co_u32_e32 v28, vcc, v0, v28
	v_addc_co_u32_e32 v29, vcc, v3, v29, vcc
	v_pack_b32_f16 v4, v56, v36
	v_mov_b32_e32 v33, v30
	global_store_dword v[28:29], v4, off
	v_lshlrev_b64 v[28:29], 2, v[32:33]
	v_add_u32_e32 v22, 0x5a0, v22
	v_add_u32_e32 v33, 0x1e0, v1
	v_mad_u64_u32 v[30:31], s[4:5], s2, v22, 0
	v_lshrrev_b32_e32 v4, 5, v33
	v_mul_hi_u32 v36, v4, s0
	v_mov_b32_e32 v4, v31
	v_mad_u64_u32 v[31:32], s[4:5], s3, v22, v[4:5]
	v_mul_u32_u24_e32 v4, 0x5a0, v36
	v_sub_u32_e32 v4, v33, v4
	v_mad_u32_u24 v22, v36, s6, v4
	v_mad_u64_u32 v[32:33], s[4:5], s2, v22, 0
	v_fma_f16 v43, v43, 2.0, -v38
	v_add_co_u32_e32 v28, vcc, v0, v28
	v_addc_co_u32_e32 v29, vcc, v3, v29, vcc
	v_pack_b32_f16 v18, v59, v43
	v_mov_b32_e32 v4, v33
	global_store_dword v[28:29], v18, off
	v_lshlrev_b64 v[28:29], 2, v[30:31]
	v_mad_u64_u32 v[30:31], s[4:5], s3, v22, v[4:5]
	v_add_co_u32_e32 v28, vcc, v0, v28
	v_addc_co_u32_e32 v29, vcc, v3, v29, vcc
	v_pack_b32_f16 v4, v64, v38
	v_mov_b32_e32 v33, v30
	global_store_dword v[28:29], v4, off
	v_lshlrev_b64 v[28:29], 2, v[32:33]
	v_add_u32_e32 v22, 0x5a0, v22
	v_add_u32_e32 v33, 0x240, v1
	v_mad_u64_u32 v[30:31], s[4:5], s2, v22, 0
	v_lshrrev_b32_e32 v4, 5, v33
	v_mul_hi_u32 v36, v4, s0
	v_mov_b32_e32 v4, v31
	v_mad_u64_u32 v[31:32], s[4:5], s3, v22, v[4:5]
	v_mul_u32_u24_e32 v4, 0x5a0, v36
	v_sub_u32_e32 v4, v33, v4
	v_mad_u32_u24 v22, v36, s6, v4
	v_mad_u64_u32 v[32:33], s[4:5], s2, v22, 0
	v_sub_f16_e32 v62, v58, v62
	v_fma_f16 v58, v58, 2.0, -v62
	v_fma_f16 v41, v41, 2.0, -v61
	v_add_co_u32_e32 v28, vcc, v0, v28
	v_addc_co_u32_e32 v29, vcc, v3, v29, vcc
	v_pack_b32_f16 v18, v58, v41
	v_mov_b32_e32 v4, v33
	global_store_dword v[28:29], v18, off
	v_lshlrev_b64 v[28:29], 2, v[30:31]
	v_mad_u64_u32 v[30:31], s[4:5], s3, v22, v[4:5]
	v_add_co_u32_e32 v28, vcc, v0, v28
	v_addc_co_u32_e32 v29, vcc, v3, v29, vcc
	v_pack_b32_f16 v4, v62, v61
	v_mov_b32_e32 v33, v30
	global_store_dword v[28:29], v4, off
	v_lshlrev_b64 v[28:29], 2, v[32:33]
	v_add_u32_e32 v22, 0x5a0, v22
	v_add_u32_e32 v33, 0x2a0, v1
	v_mad_u64_u32 v[30:31], s[4:5], s2, v22, 0
	v_lshrrev_b32_e32 v4, 5, v33
	v_mul_hi_u32 v36, v4, s0
	v_mov_b32_e32 v4, v31
	v_mad_u64_u32 v[31:32], s[4:5], s3, v22, v[4:5]
	v_mul_u32_u24_e32 v4, 0x5a0, v36
	v_sub_u32_e32 v4, v33, v4
	v_mad_u32_u24 v22, v36, s6, v4
	v_mad_u64_u32 v[32:33], s[4:5], s2, v22, 0
	v_sub_f16_e32 v65, v63, v65
	v_fma_f16 v63, v63, 2.0, -v65
	v_fma_f16 v45, v45, 2.0, -v37
	v_add_co_u32_e32 v28, vcc, v0, v28
	v_addc_co_u32_e32 v29, vcc, v3, v29, vcc
	v_pack_b32_f16 v18, v63, v45
	v_mov_b32_e32 v4, v33
	global_store_dword v[28:29], v18, off
	v_lshlrev_b64 v[28:29], 2, v[30:31]
	v_mad_u64_u32 v[30:31], s[4:5], s3, v22, v[4:5]
	v_add_co_u32_e32 v28, vcc, v0, v28
	v_addc_co_u32_e32 v29, vcc, v3, v29, vcc
	v_pack_b32_f16 v4, v65, v37
	v_mov_b32_e32 v33, v30
	global_store_dword v[28:29], v4, off
	v_lshlrev_b64 v[28:29], 2, v[32:33]
	v_add_u32_e32 v22, 0x5a0, v22
	v_add_u32_e32 v33, 0x300, v1
	v_mad_u64_u32 v[30:31], s[4:5], s2, v22, 0
	v_lshrrev_b32_e32 v4, 5, v33
	v_mul_hi_u32 v36, v4, s0
	v_mov_b32_e32 v4, v31
	v_mad_u64_u32 v[31:32], s[4:5], s3, v22, v[4:5]
	v_mul_u32_u24_e32 v4, 0x5a0, v36
	v_sub_u32_e32 v4, v33, v4
	v_mad_u32_u24 v22, v36, s6, v4
	v_mad_u64_u32 v[32:33], s[4:5], s2, v22, 0
	v_fma_f16 v46, v46, 2.0, -v35
	v_add_co_u32_e32 v28, vcc, v0, v28
	v_addc_co_u32_e32 v29, vcc, v3, v29, vcc
	v_pack_b32_f16 v18, v52, v46
	v_mov_b32_e32 v4, v33
	global_store_dword v[28:29], v18, off
	v_lshlrev_b64 v[28:29], 2, v[30:31]
	v_mad_u64_u32 v[30:31], s[4:5], s3, v22, v[4:5]
	v_add_co_u32_e32 v28, vcc, v0, v28
	v_addc_co_u32_e32 v29, vcc, v3, v29, vcc
	v_pack_b32_f16 v4, v51, v35
	v_mov_b32_e32 v33, v30
	global_store_dword v[28:29], v4, off
	v_lshlrev_b64 v[28:29], 2, v[32:33]
	v_add_u32_e32 v22, 0x5a0, v22
	v_add_u32_e32 v33, 0x360, v1
	v_mad_u64_u32 v[30:31], s[4:5], s2, v22, 0
	v_lshrrev_b32_e32 v4, 5, v33
	v_mul_hi_u32 v35, v4, s0
	v_mov_b32_e32 v4, v31
	v_mad_u64_u32 v[31:32], s[4:5], s3, v22, v[4:5]
	v_mul_u32_u24_e32 v4, 0x5a0, v35
	v_sub_u32_e32 v4, v33, v4
	v_mad_u32_u24 v22, v35, s6, v4
	v_mad_u64_u32 v[32:33], s[4:5], s2, v22, 0
	v_add_co_u32_e32 v28, vcc, v0, v28
	v_addc_co_u32_e32 v29, vcc, v3, v29, vcc
	v_pack_b32_f16 v18, v50, v44
	v_mov_b32_e32 v4, v33
	global_store_dword v[28:29], v18, off
	v_lshlrev_b64 v[28:29], 2, v[30:31]
	v_mad_u64_u32 v[30:31], s[4:5], s3, v22, v[4:5]
	v_add_co_u32_e32 v28, vcc, v0, v28
	v_addc_co_u32_e32 v29, vcc, v3, v29, vcc
	v_pack_b32_f16 v4, v47, v48
	v_mov_b32_e32 v33, v30
	global_store_dword v[28:29], v4, off
	v_lshlrev_b64 v[28:29], 2, v[32:33]
	v_add_u32_e32 v22, 0x5a0, v22
	v_add_u32_e32 v33, 0x3c0, v1
	v_mad_u64_u32 v[30:31], s[4:5], s2, v22, 0
	v_lshrrev_b32_e32 v4, 5, v33
	v_pack_b32_f16 v18, v49, v34
	v_mul_hi_u32 v34, v4, s0
	v_mov_b32_e32 v4, v31
	v_mad_u64_u32 v[31:32], s[4:5], s3, v22, v[4:5]
	v_mul_u32_u24_e32 v4, 0x5a0, v34
	v_sub_u32_e32 v4, v33, v4
	v_mad_u32_u24 v22, v34, s6, v4
	v_mad_u64_u32 v[32:33], s[4:5], s2, v22, 0
	v_add_co_u32_e32 v28, vcc, v0, v28
	v_addc_co_u32_e32 v29, vcc, v3, v29, vcc
	v_mov_b32_e32 v4, v33
	global_store_dword v[28:29], v18, off
	v_lshlrev_b64 v[28:29], 2, v[30:31]
	v_mad_u64_u32 v[30:31], s[4:5], s3, v22, v[4:5]
	v_add_co_u32_e32 v28, vcc, v0, v28
	v_addc_co_u32_e32 v29, vcc, v3, v29, vcc
	v_pack_b32_f16 v4, v26, v27
	v_mov_b32_e32 v33, v30
	v_add_u32_e32 v22, 0x5a0, v22
	v_add_u32_e32 v30, 0x420, v1
	global_store_dword v[28:29], v4, off
	v_pack_b32_f16 v18, v25, v24
	v_mad_u64_u32 v[24:25], s[4:5], s2, v22, 0
	v_lshrrev_b32_e32 v4, 5, v30
	v_mul_hi_u32 v31, v4, s0
	v_mov_b32_e32 v4, v25
	v_mad_u64_u32 v[28:29], s[4:5], s3, v22, v[4:5]
	v_mul_u32_u24_e32 v4, 0x5a0, v31
	v_sub_u32_e32 v4, v30, v4
	v_mad_u32_u24 v31, v31, s6, v4
	v_lshlrev_b64 v[26:27], 2, v[32:33]
	v_mad_u64_u32 v[29:30], s[4:5], s2, v31, 0
	v_mov_b32_e32 v25, v28
	v_add_co_u32_e32 v26, vcc, v0, v26
	v_lshlrev_b64 v[24:25], 2, v[24:25]
	v_addc_co_u32_e32 v27, vcc, v3, v27, vcc
	v_mov_b32_e32 v4, v30
	v_add_co_u32_e32 v24, vcc, v0, v24
	global_store_dword v[26:27], v18, off
	v_mad_u64_u32 v[26:27], s[4:5], s3, v31, v[4:5]
	v_addc_co_u32_e32 v25, vcc, v3, v25, vcc
	v_pack_b32_f16 v4, v21, v23
	global_store_dword v[24:25], v4, off
	v_pack_b32_f16 v25, v19, v20
	v_add_u32_e32 v20, 0x5a0, v31
	v_add_u32_e32 v23, 0x480, v1
	v_mad_u64_u32 v[18:19], s[4:5], s2, v20, 0
	v_lshrrev_b32_e32 v4, 5, v23
	v_mul_hi_u32 v24, v4, s0
	v_mov_b32_e32 v4, v19
	v_mad_u64_u32 v[19:20], s[4:5], s3, v20, v[4:5]
	v_mul_u32_u24_e32 v4, 0x5a0, v24
	v_sub_u32_e32 v4, v23, v4
	v_mov_b32_e32 v30, v26
	v_mad_u32_u24 v26, v24, s6, v4
	v_lshlrev_b64 v[21:22], 2, v[29:30]
	v_mad_u64_u32 v[23:24], s[4:5], s2, v26, 0
	v_add_co_u32_e32 v21, vcc, v0, v21
	v_lshlrev_b64 v[18:19], 2, v[18:19]
	v_addc_co_u32_e32 v22, vcc, v3, v22, vcc
	v_mov_b32_e32 v4, v24
	v_add_co_u32_e32 v18, vcc, v0, v18
	global_store_dword v[21:22], v25, off
	v_mad_u64_u32 v[20:21], s[4:5], s3, v26, v[4:5]
	v_addc_co_u32_e32 v19, vcc, v3, v19, vcc
	v_pack_b32_f16 v4, v8, v17
	global_store_dword v[18:19], v4, off
	v_add_u32_e32 v19, 0x5a0, v26
	v_add_u32_e32 v21, 0x4e0, v1
	v_mad_u64_u32 v[7:8], s[4:5], s2, v19, 0
	v_lshrrev_b32_e32 v4, 5, v21
	v_mul_hi_u32 v22, v4, s0
	v_mov_b32_e32 v4, v8
	v_mov_b32_e32 v24, v20
	v_mad_u64_u32 v[19:20], s[4:5], s3, v19, v[4:5]
	v_mul_u32_u24_e32 v4, 0x5a0, v22
	v_sub_u32_e32 v4, v21, v4
	v_mad_u32_u24 v22, v22, s6, v4
	v_mad_u64_u32 v[20:21], s[4:5], s2, v22, 0
	v_lshlrev_b64 v[17:18], 2, v[23:24]
	v_mov_b32_e32 v8, v19
	v_add_co_u32_e32 v17, vcc, v0, v17
	v_addc_co_u32_e32 v18, vcc, v3, v18, vcc
	v_mov_b32_e32 v4, v21
	global_store_dword v[17:18], v16, off
	v_mad_u64_u32 v[16:17], s[4:5], s3, v22, v[4:5]
	v_lshlrev_b64 v[7:8], 2, v[7:8]
	v_pack_b32_f16 v4, v14, v15
	v_mov_b32_e32 v21, v16
	v_add_u32_e32 v16, 0x5a0, v22
	v_mad_u64_u32 v[14:15], s[4:5], s2, v16, 0
	v_add_co_u32_e32 v7, vcc, v0, v7
	v_addc_co_u32_e32 v8, vcc, v3, v8, vcc
	v_fma_f16 v12, v12, 2.0, -v10
	v_fma_f16 v13, v13, 2.0, -v11
	global_store_dword v[7:8], v4, off
	v_mov_b32_e32 v4, v15
	v_add_u32_e32 v1, 0x540, v1
	v_pack_b32_f16 v17, v12, v13
	v_mad_u64_u32 v[12:13], s[4:5], s3, v16, v[4:5]
	v_lshrrev_b32_e32 v4, 5, v1
	v_mul_hi_u32 v4, v4, s0
	v_mov_b32_e32 v15, v12
	v_lshlrev_b64 v[7:8], 2, v[20:21]
	v_sub_f16_e32 v2, v77, v2
	v_mul_u32_u24_e32 v12, 0x5a0, v4
	v_sub_u32_e32 v1, v1, v12
	v_mad_u32_u24 v4, v4, s6, v1
	v_mad_u64_u32 v[12:13], s[0:1], s2, v4, 0
	v_add_co_u32_e32 v7, vcc, v0, v7
	v_mov_b32_e32 v1, v13
	v_addc_co_u32_e32 v8, vcc, v3, v8, vcc
	v_pack_b32_f16 v16, v10, v11
	v_mad_u64_u32 v[10:11], s[0:1], s3, v4, v[1:2]
	v_add_u32_e32 v4, 0x5a0, v4
	global_store_dword v[7:8], v17, off
	v_lshlrev_b64 v[7:8], 2, v[14:15]
	v_mad_u64_u32 v[14:15], s[0:1], s2, v4, 0
	v_add_co_u32_e32 v7, vcc, v0, v7
	v_mov_b32_e32 v1, v15
	v_addc_co_u32_e32 v8, vcc, v3, v8, vcc
	v_mov_b32_e32 v13, v10
	v_mad_u64_u32 v[10:11], s[0:1], s3, v4, v[1:2]
	global_store_dword v[7:8], v16, off
	v_lshlrev_b64 v[7:8], 2, v[12:13]
	v_fma_f16 v6, v77, 2.0, -v2
	v_fma_f16 v9, v9, 2.0, -v5
	v_add_co_u32_e32 v7, vcc, v0, v7
	v_addc_co_u32_e32 v8, vcc, v3, v8, vcc
	v_pack_b32_f16 v1, v6, v9
	v_mov_b32_e32 v15, v10
	global_store_dword v[7:8], v1, off
	v_lshlrev_b64 v[6:7], 2, v[14:15]
	v_pack_b32_f16 v2, v2, v5
	v_add_co_u32_e32 v0, vcc, v0, v6
	v_addc_co_u32_e32 v1, vcc, v3, v7, vcc
	global_store_dword v[0:1], v2, off
.LBB0_15:
	s_endpgm
	.section	.rodata,"a",@progbits
	.p2align	6, 0x0
	.amdhsa_kernel fft_rtc_fwd_len2880_factors_10_6_6_2_2_2_wgs_96_tpt_96_halfLds_half_op_CI_CI_sbrr_dirReg
		.amdhsa_group_segment_fixed_size 0
		.amdhsa_private_segment_fixed_size 0
		.amdhsa_kernarg_size 104
		.amdhsa_user_sgpr_count 6
		.amdhsa_user_sgpr_private_segment_buffer 1
		.amdhsa_user_sgpr_dispatch_ptr 0
		.amdhsa_user_sgpr_queue_ptr 0
		.amdhsa_user_sgpr_kernarg_segment_ptr 1
		.amdhsa_user_sgpr_dispatch_id 0
		.amdhsa_user_sgpr_flat_scratch_init 0
		.amdhsa_user_sgpr_private_segment_size 0
		.amdhsa_uses_dynamic_stack 0
		.amdhsa_system_sgpr_private_segment_wavefront_offset 0
		.amdhsa_system_sgpr_workgroup_id_x 1
		.amdhsa_system_sgpr_workgroup_id_y 0
		.amdhsa_system_sgpr_workgroup_id_z 0
		.amdhsa_system_sgpr_workgroup_info 0
		.amdhsa_system_vgpr_workitem_id 0
		.amdhsa_next_free_vgpr 128
		.amdhsa_next_free_sgpr 32
		.amdhsa_reserve_vcc 1
		.amdhsa_reserve_flat_scratch 0
		.amdhsa_float_round_mode_32 0
		.amdhsa_float_round_mode_16_64 0
		.amdhsa_float_denorm_mode_32 3
		.amdhsa_float_denorm_mode_16_64 3
		.amdhsa_dx10_clamp 1
		.amdhsa_ieee_mode 1
		.amdhsa_fp16_overflow 0
		.amdhsa_exception_fp_ieee_invalid_op 0
		.amdhsa_exception_fp_denorm_src 0
		.amdhsa_exception_fp_ieee_div_zero 0
		.amdhsa_exception_fp_ieee_overflow 0
		.amdhsa_exception_fp_ieee_underflow 0
		.amdhsa_exception_fp_ieee_inexact 0
		.amdhsa_exception_int_div_zero 0
	.end_amdhsa_kernel
	.text
.Lfunc_end0:
	.size	fft_rtc_fwd_len2880_factors_10_6_6_2_2_2_wgs_96_tpt_96_halfLds_half_op_CI_CI_sbrr_dirReg, .Lfunc_end0-fft_rtc_fwd_len2880_factors_10_6_6_2_2_2_wgs_96_tpt_96_halfLds_half_op_CI_CI_sbrr_dirReg
                                        ; -- End function
	.section	.AMDGPU.csdata,"",@progbits
; Kernel info:
; codeLenInByte = 22768
; NumSgprs: 36
; NumVgprs: 128
; ScratchSize: 0
; MemoryBound: 0
; FloatMode: 240
; IeeeMode: 1
; LDSByteSize: 0 bytes/workgroup (compile time only)
; SGPRBlocks: 4
; VGPRBlocks: 31
; NumSGPRsForWavesPerEU: 36
; NumVGPRsForWavesPerEU: 128
; Occupancy: 2
; WaveLimiterHint : 1
; COMPUTE_PGM_RSRC2:SCRATCH_EN: 0
; COMPUTE_PGM_RSRC2:USER_SGPR: 6
; COMPUTE_PGM_RSRC2:TRAP_HANDLER: 0
; COMPUTE_PGM_RSRC2:TGID_X_EN: 1
; COMPUTE_PGM_RSRC2:TGID_Y_EN: 0
; COMPUTE_PGM_RSRC2:TGID_Z_EN: 0
; COMPUTE_PGM_RSRC2:TIDIG_COMP_CNT: 0
	.type	__hip_cuid_f86ae2b5dccf92b9,@object ; @__hip_cuid_f86ae2b5dccf92b9
	.section	.bss,"aw",@nobits
	.globl	__hip_cuid_f86ae2b5dccf92b9
__hip_cuid_f86ae2b5dccf92b9:
	.byte	0                               ; 0x0
	.size	__hip_cuid_f86ae2b5dccf92b9, 1

	.ident	"AMD clang version 19.0.0git (https://github.com/RadeonOpenCompute/llvm-project roc-6.4.0 25133 c7fe45cf4b819c5991fe208aaa96edf142730f1d)"
	.section	".note.GNU-stack","",@progbits
	.addrsig
	.addrsig_sym __hip_cuid_f86ae2b5dccf92b9
	.amdgpu_metadata
---
amdhsa.kernels:
  - .args:
      - .actual_access:  read_only
        .address_space:  global
        .offset:         0
        .size:           8
        .value_kind:     global_buffer
      - .offset:         8
        .size:           8
        .value_kind:     by_value
      - .actual_access:  read_only
        .address_space:  global
        .offset:         16
        .size:           8
        .value_kind:     global_buffer
      - .actual_access:  read_only
        .address_space:  global
        .offset:         24
        .size:           8
        .value_kind:     global_buffer
      - .actual_access:  read_only
        .address_space:  global
        .offset:         32
        .size:           8
        .value_kind:     global_buffer
      - .offset:         40
        .size:           8
        .value_kind:     by_value
      - .actual_access:  read_only
        .address_space:  global
        .offset:         48
        .size:           8
        .value_kind:     global_buffer
      - .actual_access:  read_only
        .address_space:  global
        .offset:         56
        .size:           8
        .value_kind:     global_buffer
      - .offset:         64
        .size:           4
        .value_kind:     by_value
      - .actual_access:  read_only
        .address_space:  global
        .offset:         72
        .size:           8
        .value_kind:     global_buffer
      - .actual_access:  read_only
        .address_space:  global
        .offset:         80
        .size:           8
        .value_kind:     global_buffer
      - .actual_access:  read_only
        .address_space:  global
        .offset:         88
        .size:           8
        .value_kind:     global_buffer
      - .actual_access:  write_only
        .address_space:  global
        .offset:         96
        .size:           8
        .value_kind:     global_buffer
    .group_segment_fixed_size: 0
    .kernarg_segment_align: 8
    .kernarg_segment_size: 104
    .language:       OpenCL C
    .language_version:
      - 2
      - 0
    .max_flat_workgroup_size: 96
    .name:           fft_rtc_fwd_len2880_factors_10_6_6_2_2_2_wgs_96_tpt_96_halfLds_half_op_CI_CI_sbrr_dirReg
    .private_segment_fixed_size: 0
    .sgpr_count:     36
    .sgpr_spill_count: 0
    .symbol:         fft_rtc_fwd_len2880_factors_10_6_6_2_2_2_wgs_96_tpt_96_halfLds_half_op_CI_CI_sbrr_dirReg.kd
    .uniform_work_group_size: 1
    .uses_dynamic_stack: false
    .vgpr_count:     128
    .vgpr_spill_count: 0
    .wavefront_size: 64
amdhsa.target:   amdgcn-amd-amdhsa--gfx906
amdhsa.version:
  - 1
  - 2
...

	.end_amdgpu_metadata
